;; amdgpu-corpus repo=ROCm/rocFFT kind=compiled arch=gfx906 opt=O3
	.text
	.amdgcn_target "amdgcn-amd-amdhsa--gfx906"
	.amdhsa_code_object_version 6
	.protected	bluestein_single_fwd_len273_dim1_half_op_CI_CI ; -- Begin function bluestein_single_fwd_len273_dim1_half_op_CI_CI
	.globl	bluestein_single_fwd_len273_dim1_half_op_CI_CI
	.p2align	8
	.type	bluestein_single_fwd_len273_dim1_half_op_CI_CI,@function
bluestein_single_fwd_len273_dim1_half_op_CI_CI: ; @bluestein_single_fwd_len273_dim1_half_op_CI_CI
; %bb.0:
	s_load_dwordx4 s[0:3], s[4:5], 0x28
	v_mul_u32_u24_e32 v1, 0x13b2, v0
	v_lshrrev_b32_e32 v1, 16, v1
	v_lshl_add_u32 v14, s6, 2, v1
	v_mov_b32_e32 v15, 0
	s_waitcnt lgkmcnt(0)
	v_cmp_gt_u64_e32 vcc, s[0:1], v[14:15]
	s_and_saveexec_b64 s[0:1], vcc
	s_cbranch_execz .LBB0_15
; %bb.1:
	s_load_dwordx4 s[8:11], s[4:5], 0x18
	v_mul_lo_u16_e32 v2, 13, v1
	v_sub_u16_e32 v58, v0, v2
	v_lshlrev_b32_e32 v45, 2, v58
	s_waitcnt lgkmcnt(0)
	s_load_dwordx4 s[12:15], s[8:9], 0x0
	s_waitcnt lgkmcnt(0)
	v_mad_u64_u32 v[2:3], s[0:1], s14, v14, 0
	v_mad_u64_u32 v[4:5], s[0:1], s12, v58, 0
	v_mov_b32_e32 v0, v3
	s_mul_hi_u32 s14, s12, 21
	v_mov_b32_e32 v3, v5
	v_mad_u64_u32 v[5:6], s[0:1], s15, v14, v[0:1]
	v_mad_u64_u32 v[6:7], s[0:1], s13, v58, v[3:4]
	v_mov_b32_e32 v3, v5
	v_lshlrev_b64 v[2:3], 2, v[2:3]
	v_mov_b32_e32 v5, v6
	v_mov_b32_e32 v0, s3
	v_lshlrev_b64 v[4:5], 2, v[4:5]
	v_add_co_u32_e32 v2, vcc, s2, v2
	v_addc_co_u32_e32 v3, vcc, v0, v3, vcc
	v_add_co_u32_e32 v4, vcc, v2, v4
	v_addc_co_u32_e32 v5, vcc, v3, v5, vcc
	global_load_dword v6, v[4:5], off
	s_load_dwordx2 s[2:3], s[4:5], 0x0
	s_load_dwordx2 s[6:7], s[4:5], 0x38
	s_mul_i32 s1, s13, 21
	s_mul_i32 s0, s12, 21
	s_add_i32 s1, s14, s1
	s_waitcnt lgkmcnt(0)
	global_load_dword v71, v45, s[2:3]
	v_and_b32_e32 v0, 3, v1
	s_lshl_b64 s[14:15], s[0:1], 2
	v_mul_u32_u24_e32 v46, 0x111, v0
	v_mov_b32_e32 v8, s15
	v_add_co_u32_e32 v0, vcc, s14, v4
	v_addc_co_u32_e32 v1, vcc, v5, v8, vcc
	s_load_dwordx4 s[8:11], s[10:11], 0x0
	global_load_dword v4, v[0:1], off
	global_load_dword v70, v45, s[2:3] offset:84
	global_load_dword v69, v45, s[2:3] offset:168
	v_add_co_u32_e32 v0, vcc, s14, v0
	v_addc_co_u32_e32 v1, vcc, v1, v8, vcc
	global_load_dword v5, v[0:1], off
	v_add_co_u32_e32 v0, vcc, s14, v0
	v_addc_co_u32_e32 v1, vcc, v1, v8, vcc
	global_load_dword v9, v[0:1], off
	global_load_dword v68, v45, s[2:3] offset:252
	global_load_dword v67, v45, s[2:3] offset:336
	v_add_co_u32_e32 v0, vcc, s14, v0
	v_addc_co_u32_e32 v1, vcc, v1, v8, vcc
	global_load_dword v10, v[0:1], off
	v_add_co_u32_e32 v0, vcc, s14, v0
	v_addc_co_u32_e32 v1, vcc, v1, v8, vcc
	global_load_dword v11, v[0:1], off
	global_load_dword v66, v45, s[2:3] offset:420
	global_load_dword v65, v45, s[2:3] offset:504
	;; [unrolled: 1-line block ×3, first 2 shown]
	v_add_co_u32_e32 v0, vcc, s14, v0
	v_addc_co_u32_e32 v1, vcc, v1, v8, vcc
	global_load_dword v15, v[0:1], off
	global_load_dword v63, v45, s[2:3] offset:672
	global_load_dword v62, v45, s[2:3] offset:756
	v_add_co_u32_e32 v0, vcc, s14, v0
	v_addc_co_u32_e32 v1, vcc, v1, v8, vcc
	global_load_dword v16, v[0:1], off
	v_add_co_u32_e32 v0, vcc, s14, v0
	v_addc_co_u32_e32 v1, vcc, v1, v8, vcc
	global_load_dword v17, v[0:1], off
	;; [unrolled: 3-line block ×3, first 2 shown]
	v_mov_b32_e32 v7, s3
	v_add_co_u32_e32 v12, vcc, s2, v45
	v_addc_co_u32_e32 v13, vcc, 0, v7, vcc
	v_add_co_u32_e32 v0, vcc, s14, v0
	v_addc_co_u32_e32 v1, vcc, v1, v8, vcc
	global_load_dword v19, v[0:1], off
	global_load_dword v61, v45, s[2:3] offset:840
	v_add_co_u32_e32 v0, vcc, s14, v0
	v_addc_co_u32_e32 v1, vcc, v1, v8, vcc
	global_load_dword v20, v[0:1], off
	global_load_dword v60, v45, s[2:3] offset:924
	;; [unrolled: 4-line block ×3, first 2 shown]
	v_lshlrev_b32_e32 v72, 2, v46
	v_add_u32_e32 v57, v72, v45
	v_cmp_gt_u16_e32 vcc, 8, v58
	s_waitcnt vmcnt(25)
	v_lshrrev_b32_e32 v7, 16, v6
	s_waitcnt vmcnt(24)
	v_mul_f16_sdwa v21, v71, v7 dst_sel:DWORD dst_unused:UNUSED_PAD src0_sel:WORD_1 src1_sel:DWORD
	v_fma_f16 v21, v71, v6, v21
	v_mul_f16_sdwa v6, v71, v6 dst_sel:DWORD dst_unused:UNUSED_PAD src0_sel:WORD_1 src1_sel:DWORD
	v_fma_f16 v6, v71, v7, -v6
	v_pack_b32_f16 v6, v21, v6
	s_waitcnt vmcnt(23)
	v_lshrrev_b32_e32 v7, 16, v4
	s_waitcnt vmcnt(22)
	v_mul_f16_sdwa v21, v70, v7 dst_sel:DWORD dst_unused:UNUSED_PAD src0_sel:WORD_1 src1_sel:DWORD
	v_fma_f16 v21, v70, v4, v21
	v_mul_f16_sdwa v4, v70, v4 dst_sel:DWORD dst_unused:UNUSED_PAD src0_sel:WORD_1 src1_sel:DWORD
	v_fma_f16 v4, v70, v7, -v4
	v_pack_b32_f16 v4, v21, v4
	ds_write2_b32 v57, v6, v4 offset1:21
	s_waitcnt vmcnt(20)
	v_lshrrev_b32_e32 v4, 16, v5
	v_mul_f16_sdwa v6, v69, v4 dst_sel:DWORD dst_unused:UNUSED_PAD src0_sel:WORD_1 src1_sel:DWORD
	v_fma_f16 v6, v69, v5, v6
	v_mul_f16_sdwa v5, v69, v5 dst_sel:DWORD dst_unused:UNUSED_PAD src0_sel:WORD_1 src1_sel:DWORD
	v_fma_f16 v4, v69, v4, -v5
	s_waitcnt vmcnt(19)
	v_lshrrev_b32_e32 v5, 16, v9
	v_pack_b32_f16 v4, v6, v4
	s_waitcnt vmcnt(18)
	v_mul_f16_sdwa v6, v68, v5 dst_sel:DWORD dst_unused:UNUSED_PAD src0_sel:WORD_1 src1_sel:DWORD
	v_mul_f16_sdwa v7, v68, v9 dst_sel:DWORD dst_unused:UNUSED_PAD src0_sel:WORD_1 src1_sel:DWORD
	v_fma_f16 v6, v68, v9, v6
	v_fma_f16 v5, v68, v5, -v7
	v_pack_b32_f16 v5, v6, v5
	ds_write2_b32 v57, v4, v5 offset0:42 offset1:63
	s_waitcnt vmcnt(16)
	v_lshrrev_b32_e32 v4, 16, v10
	v_mul_f16_sdwa v5, v67, v4 dst_sel:DWORD dst_unused:UNUSED_PAD src0_sel:WORD_1 src1_sel:DWORD
	v_mul_f16_sdwa v6, v67, v10 dst_sel:DWORD dst_unused:UNUSED_PAD src0_sel:WORD_1 src1_sel:DWORD
	v_fma_f16 v5, v67, v10, v5
	v_fma_f16 v4, v67, v4, -v6
	v_pack_b32_f16 v4, v5, v4
	s_waitcnt vmcnt(15)
	v_lshrrev_b32_e32 v5, 16, v11
	s_waitcnt vmcnt(14)
	v_mul_f16_sdwa v6, v66, v5 dst_sel:DWORD dst_unused:UNUSED_PAD src0_sel:WORD_1 src1_sel:DWORD
	v_mul_f16_sdwa v7, v66, v11 dst_sel:DWORD dst_unused:UNUSED_PAD src0_sel:WORD_1 src1_sel:DWORD
	v_fma_f16 v6, v66, v11, v6
	v_fma_f16 v5, v66, v5, -v7
	v_pack_b32_f16 v5, v6, v5
	ds_write2_b32 v57, v4, v5 offset0:84 offset1:105
	s_waitcnt vmcnt(11)
	v_lshrrev_b32_e32 v4, 16, v15
	v_mul_f16_sdwa v5, v65, v4 dst_sel:DWORD dst_unused:UNUSED_PAD src0_sel:WORD_1 src1_sel:DWORD
	v_mul_f16_sdwa v6, v65, v15 dst_sel:DWORD dst_unused:UNUSED_PAD src0_sel:WORD_1 src1_sel:DWORD
	v_fma_f16 v5, v65, v15, v5
	v_fma_f16 v4, v65, v4, -v6
	v_pack_b32_f16 v4, v5, v4
	s_waitcnt vmcnt(8)
	v_lshrrev_b32_e32 v5, 16, v16
	v_mul_f16_sdwa v6, v64, v5 dst_sel:DWORD dst_unused:UNUSED_PAD src0_sel:WORD_1 src1_sel:DWORD
	v_mul_f16_sdwa v7, v64, v16 dst_sel:DWORD dst_unused:UNUSED_PAD src0_sel:WORD_1 src1_sel:DWORD
	v_fma_f16 v6, v64, v16, v6
	v_fma_f16 v5, v64, v5, -v7
	v_pack_b32_f16 v5, v6, v5
	ds_write2_b32 v57, v4, v5 offset0:126 offset1:147
	s_waitcnt vmcnt(7)
	v_lshrrev_b32_e32 v4, 16, v17
	v_mul_f16_sdwa v5, v63, v4 dst_sel:DWORD dst_unused:UNUSED_PAD src0_sel:WORD_1 src1_sel:DWORD
	v_mul_f16_sdwa v6, v63, v17 dst_sel:DWORD dst_unused:UNUSED_PAD src0_sel:WORD_1 src1_sel:DWORD
	v_fma_f16 v5, v63, v17, v5
	v_fma_f16 v4, v63, v4, -v6
	v_pack_b32_f16 v4, v5, v4
	s_waitcnt vmcnt(6)
	v_lshrrev_b32_e32 v5, 16, v18
	v_mul_f16_sdwa v6, v62, v5 dst_sel:DWORD dst_unused:UNUSED_PAD src0_sel:WORD_1 src1_sel:DWORD
	v_mul_f16_sdwa v7, v62, v18 dst_sel:DWORD dst_unused:UNUSED_PAD src0_sel:WORD_1 src1_sel:DWORD
	v_fma_f16 v6, v62, v18, v6
	v_fma_f16 v5, v62, v5, -v7
	v_pack_b32_f16 v5, v6, v5
	ds_write2_b32 v57, v4, v5 offset0:168 offset1:189
	s_waitcnt vmcnt(5)
	v_lshrrev_b32_e32 v4, 16, v19
	s_waitcnt vmcnt(4)
	v_mul_f16_sdwa v5, v61, v4 dst_sel:DWORD dst_unused:UNUSED_PAD src0_sel:WORD_1 src1_sel:DWORD
	v_mul_f16_sdwa v6, v61, v19 dst_sel:DWORD dst_unused:UNUSED_PAD src0_sel:WORD_1 src1_sel:DWORD
	v_fma_f16 v5, v61, v19, v5
	v_fma_f16 v4, v61, v4, -v6
	v_pack_b32_f16 v4, v5, v4
	s_waitcnt vmcnt(3)
	v_lshrrev_b32_e32 v5, 16, v20
	s_waitcnt vmcnt(2)
	v_mul_f16_sdwa v6, v60, v5 dst_sel:DWORD dst_unused:UNUSED_PAD src0_sel:WORD_1 src1_sel:DWORD
	v_mul_f16_sdwa v7, v60, v20 dst_sel:DWORD dst_unused:UNUSED_PAD src0_sel:WORD_1 src1_sel:DWORD
	v_fma_f16 v6, v60, v20, v6
	v_fma_f16 v5, v60, v5, -v7
	v_pack_b32_f16 v5, v6, v5
	ds_write2_b32 v57, v4, v5 offset0:210 offset1:231
	s_waitcnt vmcnt(1)
	v_lshrrev_b32_e32 v4, 16, v8
	s_waitcnt vmcnt(0)
	v_mul_f16_sdwa v5, v59, v4 dst_sel:DWORD dst_unused:UNUSED_PAD src0_sel:WORD_1 src1_sel:DWORD
	v_mul_f16_sdwa v6, v59, v8 dst_sel:DWORD dst_unused:UNUSED_PAD src0_sel:WORD_1 src1_sel:DWORD
	v_fma_f16 v5, v59, v8, v5
	v_fma_f16 v4, v59, v4, -v6
	v_pack_b32_f16 v4, v5, v4
	ds_write_b32 v57, v4 offset:1008
	s_and_saveexec_b64 s[16:17], vcc
	s_cbranch_execz .LBB0_3
; %bb.2:
	v_mov_b32_e32 v4, 0xfffffc44
	v_mad_u64_u32 v[0:1], s[0:1], s12, v4, v[0:1]
	s_mul_i32 s0, s13, 0xfffffc44
	s_sub_i32 s0, s0, s12
	v_add_u32_e32 v1, s0, v1
	global_load_dword v7, v[0:1], off
	v_mov_b32_e32 v8, s15
	v_add_co_u32_e64 v0, s[0:1], s14, v0
	v_addc_co_u32_e64 v1, s[0:1], v1, v8, s[0:1]
	global_load_dword v9, v[0:1], off
	global_load_dword v10, v[12:13], off offset:52
	global_load_dword v11, v[12:13], off offset:136
	v_add_co_u32_e64 v0, s[0:1], s14, v0
	v_addc_co_u32_e64 v1, s[0:1], v1, v8, s[0:1]
	global_load_dword v15, v[0:1], off
	v_add_co_u32_e64 v0, s[0:1], s14, v0
	v_addc_co_u32_e64 v1, s[0:1], v1, v8, s[0:1]
	global_load_dword v16, v[0:1], off
	global_load_dword v17, v[12:13], off offset:220
	global_load_dword v18, v[12:13], off offset:304
	v_add_co_u32_e64 v0, s[0:1], s14, v0
	v_addc_co_u32_e64 v1, s[0:1], v1, v8, s[0:1]
	global_load_dword v19, v[0:1], off
	v_add_co_u32_e64 v0, s[0:1], s14, v0
	v_or_b32_e32 v6, 0xa0, v58
	v_addc_co_u32_e64 v1, s[0:1], v1, v8, s[0:1]
	v_mad_u64_u32 v[4:5], s[0:1], s12, v6, 0
	global_load_dword v20, v[0:1], off
	global_load_dword v21, v[12:13], off offset:388
	global_load_dword v22, v[12:13], off offset:472
	v_mad_u64_u32 v[5:6], s[0:1], s13, v6, v[5:6]
	v_add_co_u32_e64 v0, s[0:1], s14, v0
	v_addc_co_u32_e64 v1, s[0:1], v1, v8, s[0:1]
	v_lshlrev_b64 v[4:5], 2, v[4:5]
	global_load_dword v6, v[0:1], off
	global_load_dword v23, v[12:13], off offset:556
	v_add_co_u32_e64 v2, s[0:1], v2, v4
	v_addc_co_u32_e64 v3, s[0:1], v3, v5, s[0:1]
	global_load_dword v4, v[2:3], off
	global_load_dword v5, v[12:13], off offset:640
	v_mov_b32_e32 v2, 0xa8
	v_mad_u64_u32 v[0:1], s[0:1], s12, v2, v[0:1]
	s_mul_i32 s0, s13, 0xa8
	v_add_u32_e32 v1, s0, v1
	global_load_dword v2, v[0:1], off
	global_load_dword v3, v[12:13], off offset:724
	v_add_co_u32_e64 v0, s[0:1], s14, v0
	v_addc_co_u32_e64 v1, s[0:1], v1, v8, s[0:1]
	global_load_dword v24, v[0:1], off
	global_load_dword v25, v[12:13], off offset:808
	v_add_co_u32_e64 v0, s[0:1], s14, v0
	v_addc_co_u32_e64 v1, s[0:1], v1, v8, s[0:1]
	;; [unrolled: 4-line block ×4, first 2 shown]
	global_load_dword v8, v[0:1], off
	global_load_dword v30, v[12:13], off offset:1060
	s_waitcnt vmcnt(25)
	v_lshrrev_b32_e32 v0, 16, v7
	s_waitcnt vmcnt(23)
	v_mul_f16_sdwa v1, v10, v0 dst_sel:DWORD dst_unused:UNUSED_PAD src0_sel:WORD_1 src1_sel:DWORD
	v_fma_f16 v1, v10, v7, v1
	v_mul_f16_sdwa v7, v10, v7 dst_sel:DWORD dst_unused:UNUSED_PAD src0_sel:WORD_1 src1_sel:DWORD
	v_fma_f16 v0, v10, v0, -v7
	v_pack_b32_f16 v0, v1, v0
	v_lshrrev_b32_e32 v1, 16, v9
	s_waitcnt vmcnt(22)
	v_mul_f16_sdwa v7, v11, v1 dst_sel:DWORD dst_unused:UNUSED_PAD src0_sel:WORD_1 src1_sel:DWORD
	v_fma_f16 v7, v11, v9, v7
	v_mul_f16_sdwa v9, v11, v9 dst_sel:DWORD dst_unused:UNUSED_PAD src0_sel:WORD_1 src1_sel:DWORD
	v_fma_f16 v1, v11, v1, -v9
	v_pack_b32_f16 v1, v7, v1
	ds_write2_b32 v57, v0, v1 offset0:13 offset1:34
	s_waitcnt vmcnt(21)
	v_lshrrev_b32_e32 v0, 16, v15
	s_waitcnt vmcnt(19)
	v_mul_f16_sdwa v1, v17, v0 dst_sel:DWORD dst_unused:UNUSED_PAD src0_sel:WORD_1 src1_sel:DWORD
	v_mul_f16_sdwa v7, v17, v15 dst_sel:DWORD dst_unused:UNUSED_PAD src0_sel:WORD_1 src1_sel:DWORD
	v_fma_f16 v1, v17, v15, v1
	v_fma_f16 v0, v17, v0, -v7
	v_pack_b32_f16 v0, v1, v0
	v_lshrrev_b32_e32 v1, 16, v16
	s_waitcnt vmcnt(18)
	v_mul_f16_sdwa v7, v18, v1 dst_sel:DWORD dst_unused:UNUSED_PAD src0_sel:WORD_1 src1_sel:DWORD
	v_mul_f16_sdwa v9, v18, v16 dst_sel:DWORD dst_unused:UNUSED_PAD src0_sel:WORD_1 src1_sel:DWORD
	v_fma_f16 v7, v18, v16, v7
	v_fma_f16 v1, v18, v1, -v9
	v_pack_b32_f16 v1, v7, v1
	ds_write2_b32 v57, v0, v1 offset0:55 offset1:76
	s_waitcnt vmcnt(17)
	v_lshrrev_b32_e32 v0, 16, v19
	s_waitcnt vmcnt(15)
	v_mul_f16_sdwa v1, v21, v0 dst_sel:DWORD dst_unused:UNUSED_PAD src0_sel:WORD_1 src1_sel:DWORD
	v_mul_f16_sdwa v7, v21, v19 dst_sel:DWORD dst_unused:UNUSED_PAD src0_sel:WORD_1 src1_sel:DWORD
	v_fma_f16 v1, v21, v19, v1
	v_fma_f16 v0, v21, v0, -v7
	v_pack_b32_f16 v0, v1, v0
	v_lshrrev_b32_e32 v1, 16, v20
	s_waitcnt vmcnt(14)
	v_mul_f16_sdwa v7, v22, v1 dst_sel:DWORD dst_unused:UNUSED_PAD src0_sel:WORD_1 src1_sel:DWORD
	v_mul_f16_sdwa v9, v22, v20 dst_sel:DWORD dst_unused:UNUSED_PAD src0_sel:WORD_1 src1_sel:DWORD
	v_fma_f16 v7, v22, v20, v7
	v_fma_f16 v1, v22, v1, -v9
	v_pack_b32_f16 v1, v7, v1
	ds_write2_b32 v57, v0, v1 offset0:97 offset1:118
	s_waitcnt vmcnt(13)
	v_lshrrev_b32_e32 v0, 16, v6
	s_waitcnt vmcnt(12)
	v_mul_f16_sdwa v1, v23, v0 dst_sel:DWORD dst_unused:UNUSED_PAD src0_sel:WORD_1 src1_sel:DWORD
	v_fma_f16 v1, v23, v6, v1
	v_mul_f16_sdwa v6, v23, v6 dst_sel:DWORD dst_unused:UNUSED_PAD src0_sel:WORD_1 src1_sel:DWORD
	v_fma_f16 v0, v23, v0, -v6
	v_pack_b32_f16 v0, v1, v0
	s_waitcnt vmcnt(11)
	v_lshrrev_b32_e32 v1, 16, v4
	s_waitcnt vmcnt(10)
	v_mul_f16_sdwa v6, v5, v1 dst_sel:DWORD dst_unused:UNUSED_PAD src0_sel:WORD_1 src1_sel:DWORD
	v_fma_f16 v6, v5, v4, v6
	v_mul_f16_sdwa v4, v5, v4 dst_sel:DWORD dst_unused:UNUSED_PAD src0_sel:WORD_1 src1_sel:DWORD
	v_fma_f16 v1, v5, v1, -v4
	v_pack_b32_f16 v1, v6, v1
	ds_write2_b32 v57, v0, v1 offset0:139 offset1:160
	s_waitcnt vmcnt(9)
	v_lshrrev_b32_e32 v0, 16, v2
	s_waitcnt vmcnt(8)
	v_mul_f16_sdwa v1, v3, v0 dst_sel:DWORD dst_unused:UNUSED_PAD src0_sel:WORD_1 src1_sel:DWORD
	v_fma_f16 v1, v3, v2, v1
	v_mul_f16_sdwa v2, v3, v2 dst_sel:DWORD dst_unused:UNUSED_PAD src0_sel:WORD_1 src1_sel:DWORD
	v_fma_f16 v0, v3, v0, -v2
	v_pack_b32_f16 v0, v1, v0
	s_waitcnt vmcnt(7)
	v_lshrrev_b32_e32 v1, 16, v24
	s_waitcnt vmcnt(6)
	v_mul_f16_sdwa v2, v25, v1 dst_sel:DWORD dst_unused:UNUSED_PAD src0_sel:WORD_1 src1_sel:DWORD
	v_mul_f16_sdwa v3, v25, v24 dst_sel:DWORD dst_unused:UNUSED_PAD src0_sel:WORD_1 src1_sel:DWORD
	v_fma_f16 v2, v25, v24, v2
	v_fma_f16 v1, v25, v1, -v3
	v_pack_b32_f16 v1, v2, v1
	ds_write2_b32 v57, v0, v1 offset0:181 offset1:202
	s_waitcnt vmcnt(5)
	v_lshrrev_b32_e32 v0, 16, v26
	s_waitcnt vmcnt(4)
	v_mul_f16_sdwa v1, v27, v0 dst_sel:DWORD dst_unused:UNUSED_PAD src0_sel:WORD_1 src1_sel:DWORD
	v_mul_f16_sdwa v2, v27, v26 dst_sel:DWORD dst_unused:UNUSED_PAD src0_sel:WORD_1 src1_sel:DWORD
	v_fma_f16 v1, v27, v26, v1
	v_fma_f16 v0, v27, v0, -v2
	v_pack_b32_f16 v0, v1, v0
	s_waitcnt vmcnt(3)
	v_lshrrev_b32_e32 v1, 16, v28
	s_waitcnt vmcnt(2)
	v_mul_f16_sdwa v2, v29, v1 dst_sel:DWORD dst_unused:UNUSED_PAD src0_sel:WORD_1 src1_sel:DWORD
	v_mul_f16_sdwa v3, v29, v28 dst_sel:DWORD dst_unused:UNUSED_PAD src0_sel:WORD_1 src1_sel:DWORD
	v_fma_f16 v2, v29, v28, v2
	v_fma_f16 v1, v29, v1, -v3
	v_pack_b32_f16 v1, v2, v1
	ds_write2_b32 v57, v0, v1 offset0:223 offset1:244
	s_waitcnt vmcnt(1)
	v_lshrrev_b32_e32 v0, 16, v8
	s_waitcnt vmcnt(0)
	v_mul_f16_sdwa v1, v30, v0 dst_sel:DWORD dst_unused:UNUSED_PAD src0_sel:WORD_1 src1_sel:DWORD
	v_mul_f16_sdwa v2, v30, v8 dst_sel:DWORD dst_unused:UNUSED_PAD src0_sel:WORD_1 src1_sel:DWORD
	v_fma_f16 v1, v30, v8, v1
	v_fma_f16 v0, v30, v0, -v2
	v_pack_b32_f16 v0, v1, v0
	ds_write_b32 v57, v0 offset:1060
.LBB0_3:
	s_or_b64 exec, exec, s[16:17]
	s_waitcnt lgkmcnt(0)
	; wave barrier
	s_waitcnt lgkmcnt(0)
	ds_read2_b32 v[17:18], v57 offset1:21
	ds_read2_b32 v[25:26], v57 offset0:42 offset1:63
	ds_read2_b32 v[21:22], v57 offset0:84 offset1:105
	;; [unrolled: 1-line block ×5, first 2 shown]
	ds_read_b32 v56, v57 offset:1008
	s_load_dwordx2 s[4:5], s[4:5], 0x8
	v_mov_b32_e32 v0, 0
                                        ; implicit-def: $vgpr29
                                        ; implicit-def: $vgpr3
                                        ; implicit-def: $vgpr5
                                        ; implicit-def: $vgpr7
                                        ; implicit-def: $vgpr9
                                        ; implicit-def: $vgpr11
	s_and_saveexec_b64 s[0:1], vcc
	s_cbranch_execz .LBB0_5
; %bb.4:
	ds_read2_b32 v[0:1], v57 offset0:13 offset1:34
	ds_read2_b32 v[10:11], v57 offset0:55 offset1:76
	;; [unrolled: 1-line block ×6, first 2 shown]
	ds_read_b32 v29, v57 offset:1060
.LBB0_5:
	s_or_b64 exec, exec, s[0:1]
	s_waitcnt lgkmcnt(0)
	v_pk_add_f16 v31, v1, v29 neg_lo:[0,1] neg_hi:[0,1]
	s_mov_b32 s1, 0xbbf1
	v_pk_add_f16 v30, v29, v1
	s_movk_i32 s12, 0x2fb7
	v_mul_f16_sdwa v36, v31, s1 dst_sel:DWORD dst_unused:UNUSED_PAD src0_sel:WORD_1 src1_sel:DWORD
	s_mov_b32 s16, 0xbb7b
	v_pk_add_f16 v33, v10, v3 neg_lo:[0,1] neg_hi:[0,1]
	s_mov_b32 s20, 0xb3a8
	v_fma_f16 v15, v30, s12, v36
	s_mov_b32 s15, 0xb5ac
	v_mul_f16_sdwa v39, v31, s16 dst_sel:DWORD dst_unused:UNUSED_PAD src0_sel:WORD_1 src1_sel:DWORD
	v_pk_add_f16 v32, v3, v10
	s_mov_b32 s19, 0xbbc4
	v_mul_f16_sdwa v41, v33, s20 dst_sel:DWORD dst_unused:UNUSED_PAD src0_sel:WORD_1 src1_sel:DWORD
	s_movk_i32 s28, 0x394e
	v_add_f16_e32 v15, v15, v0
	v_fma_f16 v16, v30, s15, v39
	s_mov_b32 s17, 0xb9fd
	v_fma_f16 v34, v32, s19, v41
	v_mul_f16_sdwa v47, v33, s28 dst_sel:DWORD dst_unused:UNUSED_PAD src0_sel:WORD_1 src1_sel:DWORD
	v_add_f16_e32 v16, v16, v0
	v_add_f16_e32 v15, v34, v15
	v_fma_f16 v34, v32, s17, v47
	v_pk_add_f16 v35, v11, v2 neg_lo:[0,1] neg_hi:[0,1]
	s_movk_i32 s29, 0x3b7b
	v_add_f16_e32 v16, v34, v16
	v_pk_add_f16 v34, v2, v11
	v_mul_f16_sdwa v48, v35, s29 dst_sel:DWORD dst_unused:UNUSED_PAD src0_sel:WORD_1 src1_sel:DWORD
	s_movk_i32 s21, 0x3770
	s_movk_i32 s13, 0x3b15
	v_fma_f16 v37, v34, s15, v48
	v_mul_f16_sdwa v49, v35, s21 dst_sel:DWORD dst_unused:UNUSED_PAD src0_sel:WORD_1 src1_sel:DWORD
	v_add_f16_e32 v15, v37, v15
	v_fma_f16 v37, v34, s13, v49
	v_pk_add_f16 v38, v8, v5 neg_lo:[0,1] neg_hi:[0,1]
	v_add_f16_e32 v16, v37, v16
	v_pk_add_f16 v37, v5, v8
	v_mul_f16_sdwa v50, v38, s21 dst_sel:DWORD dst_unused:UNUSED_PAD src0_sel:WORD_1 src1_sel:DWORD
	v_fma_f16 v40, v37, s13, v50
	v_mul_f16_sdwa v51, v38, s1 dst_sel:DWORD dst_unused:UNUSED_PAD src0_sel:WORD_1 src1_sel:DWORD
	s_mov_b32 s0, 0xba95
	v_add_f16_e32 v15, v40, v15
	v_fma_f16 v40, v37, s12, v51
	v_pk_add_f16 v42, v9, v4 neg_lo:[0,1] neg_hi:[0,1]
	v_pk_add_f16 v73, v17, v18
	s_movk_i32 s14, 0x388b
	v_add_f16_e32 v16, v40, v16
	s_movk_i32 s25, 0x33a8
	v_pk_add_f16 v40, v4, v9
	v_mul_f16_sdwa v52, v42, s0 dst_sel:DWORD dst_unused:UNUSED_PAD src0_sel:WORD_1 src1_sel:DWORD
	v_fma_f16 v43, v40, s14, v52
	v_mul_f16_sdwa v53, v42, s25 dst_sel:DWORD dst_unused:UNUSED_PAD src0_sel:WORD_1 src1_sel:DWORD
	v_pk_add_f16 v73, v73, v25
	s_mov_b32 s18, 0xb94e
	v_add_f16_e32 v15, v43, v15
	v_fma_f16 v43, v40, s19, v53
	v_pk_add_f16 v44, v6, v7 neg_lo:[0,1] neg_hi:[0,1]
	v_pk_add_f16 v73, v73, v26
	v_add_f16_e32 v74, v43, v16
	v_pk_add_f16 v43, v7, v6
	v_mul_f16_sdwa v54, v44, s18 dst_sel:DWORD dst_unused:UNUSED_PAD src0_sel:WORD_1 src1_sel:DWORD
	s_movk_i32 s22, 0x3a95
	v_pk_add_f16 v73, v73, v21
	s_mov_b32 s23, 0xb770
	v_fma_f16 v16, v43, s17, v54
	v_mul_f16_sdwa v55, v44, s22 dst_sel:DWORD dst_unused:UNUSED_PAD src0_sel:WORD_1 src1_sel:DWORD
	v_pk_add_f16 v73, v73, v22
	v_pk_add_f16 v76, v56, v18
	v_pk_add_f16 v18, v18, v56 neg_lo:[0,1] neg_hi:[0,1]
	v_add_f16_e32 v16, v16, v15
	v_fma_f16 v15, v43, s14, v55
	v_pk_add_f16 v73, v73, v19
	v_mul_f16_sdwa v81, v18, s23 dst_sel:DWORD dst_unused:UNUSED_PAD src0_sel:WORD_1 src1_sel:DWORD
	v_add_f16_e32 v15, v15, v74
	v_pk_add_f16 v73, v73, v20
	v_pk_add_f16 v74, v28, v25
	v_pk_add_f16 v77, v25, v28 neg_lo:[0,1] neg_hi:[0,1]
	v_pk_add_f16 v25, v27, v26
	v_pk_add_f16 v78, v26, v27 neg_lo:[0,1] neg_hi:[0,1]
	;; [unrolled: 2-line block ×4, first 2 shown]
	v_fma_f16 v22, v76, s13, -v81
	v_pk_add_f16 v73, v73, v23
	v_add_f16_e32 v23, v17, v22
	v_mul_f16_sdwa v22, v77, s0 dst_sel:DWORD dst_unused:UNUSED_PAD src0_sel:WORD_1 src1_sel:DWORD
	v_pk_add_f16 v73, v73, v24
	v_fma_f16 v24, v74, s14, -v22
	s_mov_b32 s33, 0x3b15388b
	v_add_f16_e32 v24, v24, v23
	s_mov_b32 s26, 0xba95b770
	v_pk_mul_f16 v23, v76, s33
	v_pk_add_f16 v73, v73, v27
	s_mov_b32 s34, 0x388bb5ac
	v_pk_fma_f16 v82, v18, s26, v23 op_sel:[0,0,1] op_sel_hi:[1,1,0] neg_lo:[1,0,0] neg_hi:[1,0,0]
	v_pk_fma_f16 v83, v18, s26, v23 op_sel:[0,0,1] op_sel_hi:[1,1,0]
	s_mov_b32 s24, 0xffff
	v_pk_add_f16 v75, v73, v28
	s_mov_b32 s27, 0xbb7bba95
	v_bfi_b32 v23, s24, v83, v82
	v_pk_mul_f16 v28, v74, s34
	v_pk_add_f16 v27, v17, v23 op_sel:[1,0] op_sel_hi:[0,1]
	v_pk_fma_f16 v23, v77, s27, v28 op_sel:[0,0,1] op_sel_hi:[1,1,0] neg_lo:[1,0,0] neg_hi:[1,0,0]
	v_pk_fma_f16 v84, v77, s27, v28 op_sel:[0,0,1] op_sel_hi:[1,1,0]
	v_bfi_b32 v28, s24, v84, v23
	v_lshrrev_b32_e32 v85, 16, v76
	v_mul_f16_e32 v86, 0xba95, v18
	v_pk_add_f16 v28, v28, v27
	v_fma_f16 v27, v85, s14, v86
	v_lshrrev_b32_e32 v87, 16, v74
	v_mul_f16_e32 v88, 0xbb7b, v77
	v_add_f16_sdwa v27, v17, v27 dst_sel:DWORD dst_unused:UNUSED_PAD src0_sel:WORD_1 src1_sel:DWORD
	v_fma_f16 v73, v87, s15, v88
	v_add_f16_e32 v73, v73, v27
	v_mul_f16_sdwa v27, v78, s1 dst_sel:DWORD dst_unused:UNUSED_PAD src0_sel:WORD_1 src1_sel:DWORD
	s_mov_b32 s36, 0x2fb7bbc4
	v_fma_f16 v89, v25, s12, -v27
	s_mov_b32 s30, 0xb3a8bbf1
	v_pk_mul_f16 v90, v25, s36
	v_add_f16_e32 v89, v89, v24
	v_pk_fma_f16 v24, v78, s30, v90 op_sel:[0,0,1] op_sel_hi:[1,1,0] neg_lo:[1,0,0] neg_hi:[1,0,0]
	v_pk_fma_f16 v90, v78, s30, v90 op_sel:[0,0,1] op_sel_hi:[1,1,0]
	v_bfi_b32 v91, s24, v90, v24
	v_lshrrev_b32_e32 v92, 16, v25
	v_mul_f16_e32 v93, 0xb3a8, v78
	v_pk_add_f16 v91, v91, v28
	v_fma_f16 v28, v92, s19, v93
	v_mul_f16_sdwa v124, v79, s16 dst_sel:DWORD dst_unused:UNUSED_PAD src0_sel:WORD_1 src1_sel:DWORD
	s_mov_b32 s37, 0xb5acb9fd
	v_add_f16_e32 v73, v28, v73
	v_fma_f16 v28, v26, s15, -v124
	s_mov_b32 s31, 0x394ebb7b
	v_pk_mul_f16 v94, v26, s37
	v_add_f16_e32 v89, v28, v89
	v_pk_fma_f16 v28, v79, s31, v94 op_sel:[0,0,1] op_sel_hi:[1,1,0] neg_lo:[1,0,0] neg_hi:[1,0,0]
	v_pk_fma_f16 v94, v79, s31, v94 op_sel:[0,0,1] op_sel_hi:[1,1,0]
	v_bfi_b32 v95, s24, v94, v28
	v_pk_add_f16 v91, v95, v91
	v_lshrrev_b32_e32 v95, 16, v26
	v_mul_f16_e32 v96, 0x394e, v79
	v_fma_f16 v97, v95, s17, v96
	v_mul_f16_sdwa v125, v80, s18 dst_sel:DWORD dst_unused:UNUSED_PAD src0_sel:WORD_1 src1_sel:DWORD
	v_add_f16_e32 v73, v97, v73
	v_fma_f16 v97, v21, s17, -v125
	s_mov_b32 s38, 0xb9fd2fb7
	v_add_f16_e32 v89, v97, v89
	s_mov_b32 s35, 0x3bf1b94e
	v_pk_mul_f16 v97, v21, s38
	v_pk_fma_f16 v126, v80, s35, v97 op_sel:[0,0,1] op_sel_hi:[1,1,0] neg_lo:[1,0,0] neg_hi:[1,0,0]
	v_pk_fma_f16 v97, v80, s35, v97 op_sel:[0,0,1] op_sel_hi:[1,1,0]
	v_pk_add_f16 v127, v20, v19
	v_pk_add_f16 v19, v19, v20 neg_lo:[0,1] neg_hi:[0,1]
	v_bfi_b32 v98, s24, v97, v126
	v_mul_f16_sdwa v128, v19, s20 dst_sel:DWORD dst_unused:UNUSED_PAD src0_sel:WORD_1 src1_sel:DWORD
	v_pk_add_f16 v91, v98, v91
	v_lshrrev_b32_e32 v98, 16, v21
	v_mul_f16_e32 v99, 0x3bf1, v80
	v_fma_f16 v20, v127, s19, -v128
	s_mov_b32 s40, 0xbbc43b15
	v_fma_f16 v100, v98, s12, v99
	v_add_f16_e32 v20, v20, v89
	s_mov_b32 s39, 0x3770b3a8
	v_pk_mul_f16 v89, v127, s40
	v_add_f16_e32 v73, v100, v73
	v_pk_fma_f16 v129, v19, s39, v89 op_sel:[0,0,1] op_sel_hi:[1,1,0] neg_lo:[1,0,0] neg_hi:[1,0,0]
	v_pk_fma_f16 v100, v19, s39, v89 op_sel:[0,0,1] op_sel_hi:[1,1,0]
	v_bfi_b32 v100, s24, v100, v129
	v_pk_add_f16 v91, v100, v91
	v_lshrrev_b32_e32 v100, 16, v127
	v_mul_f16_e32 v101, 0x3770, v19
	v_fma_f16 v102, v100, s13, v101
	v_add_f16_e32 v73, v102, v73
	v_alignbit_b32 v102, v73, v91, 16
	v_mul_lo_u16_e32 v73, 13, v58
	v_pack_b32_f16 v20, v20, v91
	v_lshl_add_u32 v73, v73, 2, v72
	s_waitcnt lgkmcnt(0)
	; wave barrier
	ds_write2_b32 v73, v20, v102 offset0:1 offset1:2
	v_mul_f16_sdwa v20, v18, s1 dst_sel:DWORD dst_unused:UNUSED_PAD src0_sel:WORD_1 src1_sel:DWORD
	v_fma_f16 v91, v76, s12, -v20
	v_mul_f16_sdwa v102, v77, s20 dst_sel:DWORD dst_unused:UNUSED_PAD src0_sel:WORD_1 src1_sel:DWORD
	v_add_f16_e32 v91, v17, v91
	v_fma_f16 v103, v74, s19, -v102
	v_add_f16_e32 v91, v103, v91
	v_mul_f16_e32 v103, 0xbbf1, v18
	v_fma_f16 v104, v85, s12, v103
	v_mul_f16_e32 v105, 0xb3a8, v77
	v_add_f16_sdwa v104, v17, v104 dst_sel:DWORD dst_unused:UNUSED_PAD src0_sel:WORD_1 src1_sel:DWORD
	v_fma_f16 v106, v87, s19, v105
	v_add_f16_e32 v104, v106, v104
	v_mul_f16_sdwa v106, v18, s16 dst_sel:DWORD dst_unused:UNUSED_PAD src0_sel:WORD_1 src1_sel:DWORD
	v_fma_f16 v107, v76, s15, -v106
	v_mul_f16_sdwa v108, v77, s28 dst_sel:DWORD dst_unused:UNUSED_PAD src0_sel:WORD_1 src1_sel:DWORD
	v_add_f16_e32 v107, v17, v107
	v_fma_f16 v109, v74, s17, -v108
	v_add_f16_e32 v107, v109, v107
	v_mul_f16_e32 v109, 0xbb7b, v18
	v_fma_f16 v110, v85, s15, v109
	v_mul_f16_e32 v111, 0x394e, v77
	v_add_f16_sdwa v110, v17, v110 dst_sel:DWORD dst_unused:UNUSED_PAD src0_sel:WORD_1 src1_sel:DWORD
	v_fma_f16 v112, v87, s17, v111
	v_add_f16_e32 v110, v112, v110
	v_mul_f16_sdwa v112, v78, s29 dst_sel:DWORD dst_unused:UNUSED_PAD src0_sel:WORD_1 src1_sel:DWORD
	v_fma_f16 v113, v25, s15, -v112
	v_add_f16_e32 v91, v113, v91
	v_mul_f16_e32 v113, 0x3b7b, v78
	v_fma_f16 v114, v92, s15, v113
	v_add_f16_e32 v104, v114, v104
	v_mul_f16_sdwa v114, v78, s21 dst_sel:DWORD dst_unused:UNUSED_PAD src0_sel:WORD_1 src1_sel:DWORD
	v_fma_f16 v115, v25, s13, -v114
	v_add_f16_e32 v107, v115, v107
	v_mul_f16_e32 v115, 0x3770, v78
	v_fma_f16 v116, v92, s13, v115
	v_add_f16_e32 v110, v116, v110
	v_mul_f16_sdwa v116, v79, s21 dst_sel:DWORD dst_unused:UNUSED_PAD src0_sel:WORD_1 src1_sel:DWORD
	v_fma_f16 v117, v26, s13, -v116
	v_add_f16_e32 v91, v117, v91
	v_mul_f16_e32 v117, 0x3770, v79
	v_fma_f16 v118, v95, s13, v117
	v_add_f16_e32 v104, v118, v104
	v_mul_f16_sdwa v118, v79, s1 dst_sel:DWORD dst_unused:UNUSED_PAD src0_sel:WORD_1 src1_sel:DWORD
	v_fma_f16 v119, v26, s12, -v118
	v_add_f16_e32 v107, v119, v107
	v_mul_f16_e32 v119, 0xbbf1, v79
	v_fma_f16 v120, v95, s12, v119
	v_add_f16_e32 v110, v120, v110
	v_mul_f16_sdwa v120, v80, s0 dst_sel:DWORD dst_unused:UNUSED_PAD src0_sel:WORD_1 src1_sel:DWORD
	v_fma_f16 v121, v21, s14, -v120
	v_add_f16_e32 v91, v121, v91
	v_mul_f16_e32 v121, 0xba95, v80
	v_fma_f16 v122, v98, s14, v121
	v_add_f16_e32 v104, v122, v104
	v_mul_f16_sdwa v122, v80, s25 dst_sel:DWORD dst_unused:UNUSED_PAD src0_sel:WORD_1 src1_sel:DWORD
	v_fma_f16 v123, v21, s19, -v122
	v_add_f16_e32 v107, v123, v107
	v_mul_f16_e32 v123, 0x33a8, v80
	v_fma_f16 v130, v98, s19, v123
	v_add_f16_e32 v110, v130, v110
	v_mul_f16_sdwa v130, v19, s18 dst_sel:DWORD dst_unused:UNUSED_PAD src0_sel:WORD_1 src1_sel:DWORD
	v_fma_f16 v131, v127, s17, -v130
	v_add_f16_e32 v91, v131, v91
	v_mul_f16_e32 v131, 0xb9fd, v100
	v_fma_f16 v132, v19, s18, v131
	v_add_f16_e32 v104, v132, v104
	v_mul_f16_sdwa v132, v19, s22 dst_sel:DWORD dst_unused:UNUSED_PAD src0_sel:WORD_1 src1_sel:DWORD
	v_fma_f16 v133, v127, s14, -v132
	v_add_f16_e32 v107, v133, v107
	v_mul_f16_e32 v133, 0x3a95, v19
	v_fma_f16 v134, v100, s14, v133
	v_add_f16_e32 v110, v134, v110
	v_pack_b32_f16 v107, v107, v110
	v_pack_b32_f16 v91, v91, v104
	v_pk_add_f16 v56, v75, v56
	s_movk_i32 s28, 0x3bf1
	v_mul_f16_sdwa v75, v18, s18 dst_sel:DWORD dst_unused:UNUSED_PAD src0_sel:WORD_1 src1_sel:DWORD
	ds_write2_b32 v73, v91, v107 offset0:3 offset1:4
	v_fma_f16 v91, v76, s17, -v75
	v_mul_f16_sdwa v104, v77, s28 dst_sel:DWORD dst_unused:UNUSED_PAD src0_sel:WORD_1 src1_sel:DWORD
	v_add_f16_e32 v91, v17, v91
	v_fma_f16 v107, v74, s12, -v104
	v_add_f16_e32 v91, v107, v91
	v_mul_f16_e32 v107, 0xb94e, v18
	v_fma_f16 v110, v85, s17, v107
	v_mul_f16_e32 v134, 0x3bf1, v77
	v_add_f16_sdwa v110, v17, v110 dst_sel:DWORD dst_unused:UNUSED_PAD src0_sel:WORD_1 src1_sel:DWORD
	v_fma_f16 v135, v87, s12, v134
	v_add_f16_e32 v110, v135, v110
	v_mul_f16_sdwa v135, v78, s0 dst_sel:DWORD dst_unused:UNUSED_PAD src0_sel:WORD_1 src1_sel:DWORD
	v_fma_f16 v136, v25, s14, -v135
	v_add_f16_e32 v91, v136, v91
	v_mul_f16_e32 v136, 0xba95, v78
	v_fma_f16 v137, v92, s14, v136
	v_add_f16_e32 v110, v137, v110
	v_mul_f16_sdwa v137, v79, s25 dst_sel:DWORD dst_unused:UNUSED_PAD src0_sel:WORD_1 src1_sel:DWORD
	v_fma_f16 v138, v26, s19, -v137
	v_add_f16_e32 v91, v138, v91
	v_mul_f16_e32 v138, 0x33a8, v79
	;; [unrolled: 6-line block ×4, first 2 shown]
	v_fma_f16 v143, v100, s15, v142
	v_add_f16_e32 v110, v143, v110
	v_pack_b32_f16 v91, v91, v110
	ds_write2_b32 v73, v56, v91 offset1:5
	v_fma_f16 v56, v85, s14, -v86
	v_fma_f16 v86, v85, s12, -v103
	v_fma_f16 v81, v76, s13, v81
	v_fma_f16 v20, v76, s12, v20
	;; [unrolled: 1-line block ×4, first 2 shown]
	v_pk_mul_f16 v76, v76, s19 op_sel_hi:[1,0]
	v_fma_f16 v91, v85, s15, -v109
	v_fma_f16 v85, v85, s17, -v107
	v_pk_fma_f16 v106, v18, s20, v76 op_sel:[0,0,1] op_sel_hi:[1,0,0] neg_lo:[1,0,0] neg_hi:[1,0,0]
	v_pk_fma_f16 v18, v18, s20, v76 op_sel:[0,0,1] op_sel_hi:[1,0,0]
	v_add_f16_e32 v143, v17, v81
	v_pk_add_f16 v76, v17, v83 op_sel:[1,0] op_sel_hi:[0,1]
	v_add_f16_sdwa v56, v17, v56 dst_sel:DWORD dst_unused:UNUSED_PAD src0_sel:WORD_1 src1_sel:DWORD
	v_add_f16_e32 v20, v17, v20
	v_add_f16_sdwa v81, v17, v86 dst_sel:DWORD dst_unused:UNUSED_PAD src0_sel:WORD_1 src1_sel:DWORD
	v_add_f16_e32 v83, v17, v103
	;; [unrolled: 2-line block ×3, first 2 shown]
	v_add_f16_sdwa v85, v17, v85 dst_sel:DWORD dst_unused:UNUSED_PAD src0_sel:WORD_1 src1_sel:DWORD
	v_add_f16_sdwa v144, v17, v82 dst_sel:DWORD dst_unused:UNUSED_PAD src0_sel:WORD_1 src1_sel:DWORD
	v_pk_add_f16 v82, v17, v106 op_sel:[1,0] op_sel_hi:[0,1]
	v_pk_add_f16 v17, v17, v18 op_sel:[1,0] op_sel_hi:[0,1]
	v_pk_mul_f16 v18, v74, s13 op_sel_hi:[1,0]
	v_pk_fma_f16 v91, v77, s21, v18 op_sel:[0,0,1] op_sel_hi:[1,0,0] neg_lo:[1,0,0] neg_hi:[1,0,0]
	v_pk_fma_f16 v18, v77, s21, v18 op_sel:[0,0,1] op_sel_hi:[1,0,0]
	v_pk_add_f16 v17, v18, v17
	v_pk_mul_f16 v18, v25, s17 op_sel_hi:[1,0]
	v_pk_fma_f16 v77, v78, s18, v18 op_sel:[0,0,1] op_sel_hi:[1,0,0] neg_lo:[1,0,0] neg_hi:[1,0,0]
	v_pk_fma_f16 v18, v78, s18, v18 op_sel:[0,0,1] op_sel_hi:[1,0,0]
	v_pk_add_f16 v17, v18, v17
	v_pk_mul_f16 v18, v26, s14 op_sel_hi:[1,0]
	v_pk_add_f16 v82, v91, v82
	v_pk_fma_f16 v78, v79, s22, v18 op_sel:[0,0,1] op_sel_hi:[1,0,0] neg_lo:[1,0,0] neg_hi:[1,0,0]
	v_pk_fma_f16 v18, v79, s22, v18 op_sel:[0,0,1] op_sel_hi:[1,0,0]
	v_pk_add_f16 v77, v77, v82
	v_pk_add_f16 v17, v18, v17
	v_pk_mul_f16 v18, v21, s15 op_sel_hi:[1,0]
	v_pk_add_f16 v77, v78, v77
	v_pk_fma_f16 v78, v80, s16, v18 op_sel:[0,0,1] op_sel_hi:[1,0,0] neg_lo:[1,0,0] neg_hi:[1,0,0]
	v_pk_fma_f16 v18, v80, s16, v18 op_sel:[0,0,1] op_sel_hi:[1,0,0]
	v_pk_add_f16 v17, v18, v17
	v_pk_mul_f16 v18, v127, s12 op_sel_hi:[1,0]
	v_pk_add_f16 v77, v78, v77
	v_pk_fma_f16 v78, v19, s28, v18 op_sel:[0,0,1] op_sel_hi:[1,0,0] neg_lo:[1,0,0] neg_hi:[1,0,0]
	v_pk_fma_f16 v18, v19, s28, v18 op_sel:[0,0,1] op_sel_hi:[1,0,0]
	v_pk_add_f16 v77, v78, v77
	v_pk_add_f16 v17, v18, v17
	v_alignbit_b32 v18, v77, v17, 16
	v_alignbit_b32 v17, v17, v77, 16
	ds_write2_b32 v73, v17, v18 offset0:6 offset1:7
	v_fma_f16 v17, v74, s17, v108
	v_add_f16_e32 v17, v17, v83
	v_fma_f16 v18, v87, s17, -v111
	v_fma_f16 v78, v25, s13, v114
	v_add_f16_e32 v18, v18, v86
	v_fma_f16 v77, v74, s12, v104
	v_add_f16_e32 v17, v78, v17
	v_fma_f16 v78, v92, s13, -v115
	v_add_f16_e32 v75, v77, v75
	v_fma_f16 v77, v87, s12, -v134
	v_add_f16_e32 v18, v78, v18
	v_fma_f16 v78, v25, s14, v135
	v_add_f16_e32 v77, v77, v85
	v_add_f16_e32 v75, v78, v75
	v_fma_f16 v78, v92, s14, -v136
	v_add_f16_e32 v77, v78, v77
	v_fma_f16 v78, v26, s12, v118
	v_add_f16_e32 v17, v78, v17
	v_fma_f16 v78, v95, s12, -v119
	v_add_f16_e32 v18, v78, v18
	v_fma_f16 v78, v26, s19, v137
	;; [unrolled: 4-line block ×6, first 2 shown]
	v_add_f16_e32 v75, v78, v75
	v_fma_f16 v78, v100, s15, -v142
	v_add_f16_e32 v77, v78, v77
	v_pack_b32_f16 v17, v17, v18
	v_pack_b32_f16 v18, v75, v77
	ds_write2_b32 v73, v18, v17 offset0:8 offset1:9
	v_fma_f16 v18, v87, s15, -v88
	v_add_f16_e32 v18, v18, v56
	v_fma_f16 v56, v74, s19, v102
	v_fma_f16 v75, v92, s19, -v93
	v_add_f16_e32 v20, v56, v20
	v_fma_f16 v56, v87, s19, -v105
	v_add_f16_e32 v18, v75, v18
	v_fma_f16 v75, v25, s15, v112
	v_add_f16_e32 v56, v56, v81
	v_add_f16_e32 v20, v75, v20
	v_fma_f16 v75, v92, s15, -v113
	v_add_f16_e32 v56, v75, v56
	v_fma_f16 v75, v95, s17, -v96
	v_add_f16_e32 v18, v75, v18
	v_fma_f16 v75, v26, s13, v116
	v_add_f16_e32 v20, v75, v20
	v_fma_f16 v75, v95, s13, -v117
	v_add_f16_e32 v56, v75, v56
	v_fma_f16 v75, v98, s12, -v99
	v_pk_add_f16 v17, v84, v76
	v_add_f16_e32 v18, v75, v18
	v_fma_f16 v75, v21, s14, v120
	v_fma_f16 v76, v100, s13, -v101
	v_pk_add_f16 v17, v90, v17
	v_add_f16_e32 v20, v75, v20
	v_add_f16_e32 v18, v76, v18
	v_fma_f16 v76, v127, s17, v130
	v_pk_add_f16 v17, v94, v17
	v_add_f16_e32 v20, v76, v20
	v_pk_mul_f16 v76, v19, s39
	v_mul_f16_e32 v19, 0xb94e, v19
	v_fma_f16 v75, v98, s14, -v121
	v_bfi_b32 v19, s24, v19, v17
	v_pack_b32_f16 v75, v75, v89
	v_bfi_b32 v56, s24, v56, v76
	v_pk_add_f16 v19, v131, v19 neg_lo:[0,1] neg_hi:[0,1]
	v_pk_add_f16 v17, v97, v17
	v_pk_add_f16 v56, v75, v56
	v_bfi_b32 v17, s24, v19, v17
	v_pk_add_f16 v17, v17, v56
	v_alignbit_b32 v18, v18, v17, 16
	v_pack_b32_f16 v17, v20, v17
	v_mul_f16_sdwa v19, v31, s23 dst_sel:DWORD dst_unused:UNUSED_PAD src0_sel:WORD_1 src1_sel:DWORD
	ds_write2_b32 v73, v17, v18 offset0:10 offset1:11
	v_fma_f16 v17, v30, s13, v19
	v_mul_f16_sdwa v20, v33, s0 dst_sel:DWORD dst_unused:UNUSED_PAD src0_sel:WORD_1 src1_sel:DWORD
	v_add_f16_e32 v17, v17, v0
	v_fma_f16 v18, v32, s14, v20
	v_lshrrev_b32_e32 v110, 16, v30
	v_mul_f16_e32 v56, 0xba95, v31
	v_add_f16_e32 v17, v18, v17
	v_fma_f16 v18, v110, s14, -v56
	v_lshrrev_b32_e32 v109, 16, v32
	v_mul_f16_e32 v80, 0xbb7b, v33
	v_add_f16_sdwa v18, v18, v0 dst_sel:DWORD dst_unused:UNUSED_PAD src0_sel:DWORD src1_sel:WORD_1
	v_fma_f16 v75, v109, s15, -v80
	v_mul_f16_e32 v83, 0xbbf1, v31
	v_add_f16_e32 v18, v75, v18
	v_fma_f16 v75, v110, s12, -v83
	v_mul_f16_e32 v85, 0xb3a8, v33
	v_add_f16_sdwa v75, v75, v0 dst_sel:DWORD dst_unused:UNUSED_PAD src0_sel:DWORD src1_sel:WORD_1
	v_fma_f16 v76, v109, s19, -v85
	v_mul_f16_e32 v90, 0xbb7b, v31
	v_add_f16_e32 v75, v76, v75
	v_fma_f16 v76, v110, s15, -v90
	v_mul_f16_e32 v91, 0x394e, v33
	v_add_f16_sdwa v76, v76, v0 dst_sel:DWORD dst_unused:UNUSED_PAD src0_sel:DWORD src1_sel:WORD_1
	v_fma_f16 v77, v109, s17, -v91
	v_mul_f16_sdwa v94, v31, s18 dst_sel:DWORD dst_unused:UNUSED_PAD src0_sel:WORD_1 src1_sel:DWORD
	v_add_f16_e32 v76, v77, v76
	v_fma_f16 v77, v30, s17, v94
	v_mul_f16_sdwa v96, v33, s28 dst_sel:DWORD dst_unused:UNUSED_PAD src0_sel:WORD_1 src1_sel:DWORD
	v_add_f16_e32 v77, v77, v0
	v_fma_f16 v78, v32, s12, v96
	v_mul_f16_e32 v104, 0xb94e, v31
	v_add_f16_e32 v77, v78, v77
	v_fma_f16 v78, v110, s17, -v104
	v_mul_f16_e32 v105, 0x3bf1, v33
	v_add_f16_sdwa v78, v78, v0 dst_sel:DWORD dst_unused:UNUSED_PAD src0_sel:DWORD src1_sel:WORD_1
	v_fma_f16 v79, v109, s12, -v105
	v_mul_f16_sdwa v81, v35, s1 dst_sel:DWORD dst_unused:UNUSED_PAD src0_sel:WORD_1 src1_sel:DWORD
	v_add_f16_e32 v78, v79, v78
	v_fma_f16 v79, v34, s12, v81
	v_lshrrev_b32_e32 v115, 16, v34
	v_mul_f16_e32 v84, 0xb3a8, v35
	v_add_f16_e32 v17, v79, v17
	v_fma_f16 v79, v115, s19, -v84
	v_mul_f16_e32 v88, 0x3b7b, v35
	v_add_f16_e32 v18, v79, v18
	v_fma_f16 v79, v115, s15, -v88
	;; [unrolled: 3-line block ×3, first 2 shown]
	v_mul_f16_sdwa v106, v35, s0 dst_sel:DWORD dst_unused:UNUSED_PAD src0_sel:WORD_1 src1_sel:DWORD
	v_add_f16_e32 v76, v79, v76
	v_fma_f16 v79, v34, s14, v106
	v_mul_f16_e32 v111, 0xba95, v35
	v_add_f16_e32 v77, v79, v77
	v_fma_f16 v79, v115, s14, -v111
	v_mul_f16_sdwa v82, v38, s16 dst_sel:DWORD dst_unused:UNUSED_PAD src0_sel:WORD_1 src1_sel:DWORD
	v_add_f16_e32 v78, v79, v78
	v_fma_f16 v79, v37, s15, v82
	v_lshrrev_b32_e32 v118, 16, v37
	v_mul_f16_e32 v87, 0x394e, v38
	v_fma_f16 v22, v74, s14, v22
	v_add_f16_e32 v17, v79, v17
	v_fma_f16 v79, v118, s17, -v87
	v_mul_f16_e32 v93, 0x3770, v38
	v_add_f16_e32 v22, v22, v143
	v_fma_f16 v25, v25, s12, v27
	v_add_f16_e32 v18, v79, v18
	v_fma_f16 v79, v118, s13, -v93
	v_mul_f16_e32 v108, 0xbbf1, v38
	v_add_f16_e32 v22, v25, v22
	v_fma_f16 v25, v26, s15, v124
	v_add_f16_e32 v75, v79, v75
	v_fma_f16 v79, v118, s12, -v108
	v_mul_f16_sdwa v112, v38, s25 dst_sel:DWORD dst_unused:UNUSED_PAD src0_sel:WORD_1 src1_sel:DWORD
	v_add_f16_e32 v22, v25, v22
	v_fma_f16 v21, v21, s17, v125
	v_add_f16_e32 v76, v79, v76
	v_fma_f16 v79, v37, s19, v112
	v_mul_f16_e32 v116, 0x33a8, v38
	v_add_f16_e32 v21, v21, v22
	v_fma_f16 v22, v127, s19, v128
	v_add_f16_e32 v77, v79, v77
	v_fma_f16 v79, v118, s19, -v116
	v_mul_f16_sdwa v86, v42, s18 dst_sel:DWORD dst_unused:UNUSED_PAD src0_sel:WORD_1 src1_sel:DWORD
	v_add_f16_e32 v21, v22, v21
	v_add_f16_e32 v22, v23, v144
	;; [unrolled: 1-line block ×3, first 2 shown]
	v_fma_f16 v79, v40, s17, v86
	v_lshrrev_b32_e32 v120, 16, v40
	v_mul_f16_e32 v92, 0x3bf1, v42
	v_add_f16_e32 v22, v24, v22
	v_add_f16_e32 v17, v79, v17
	v_fma_f16 v79, v120, s12, -v92
	v_mul_f16_e32 v103, 0xba95, v42
	v_add_f16_e32 v22, v28, v22
	v_add_f16_e32 v79, v79, v18
	v_fma_f16 v18, v120, s14, -v103
	;; [unrolled: 4-line block ×3, first 2 shown]
	v_mul_f16_sdwa v117, v42, s21 dst_sel:DWORD dst_unused:UNUSED_PAD src0_sel:WORD_1 src1_sel:DWORD
	v_add_f16_e32 v22, v129, v22
	v_add_f16_e32 v122, v18, v76
	v_fma_f16 v18, v40, s13, v117
	v_mul_f16_e32 v119, 0x3770, v42
	v_pk_mul_f16 v131, v30, s33
	v_pack_b32_f16 v21, v21, v22
	v_add_f16_e32 v130, v18, v77
	v_fma_f16 v18, v120, s13, -v119
	v_mul_f16_sdwa v89, v44, s20 dst_sel:DWORD dst_unused:UNUSED_PAD src0_sel:WORD_1 src1_sel:DWORD
	v_pk_mul_f16 v132, v32, s34
	v_lshrrev_b32_e32 v123, 16, v43
	v_mul_f16_e32 v114, 0xb94e, v44
	ds_write_b32 v73, v21 offset:48
	v_pk_fma_f16 v21, v31, s26, v131 op_sel:[0,0,1] op_sel_hi:[1,1,0] neg_lo:[1,0,0] neg_hi:[1,0,0]
	v_add_f16_e32 v78, v18, v78
	v_fma_f16 v18, v43, s19, v89
	v_pk_fma_f16 v95, v31, s26, v131 op_sel:[0,0,1] op_sel_hi:[1,1,0]
	v_pk_mul_f16 v133, v34, s36
	v_fma_f16 v76, v123, s17, -v114
	v_pk_fma_f16 v23, v33, s27, v132 op_sel:[0,0,1] op_sel_hi:[1,1,0] neg_lo:[1,0,0] neg_hi:[1,0,0]
	v_add_f16_sdwa v22, v21, v0 dst_sel:DWORD dst_unused:UNUSED_PAD src0_sel:DWORD src1_sel:WORD_1
	v_add_f16_e32 v18, v18, v17
	v_pk_fma_f16 v97, v33, s27, v132 op_sel:[0,0,1] op_sel_hi:[1,1,0]
	v_add_f16_sdwa v17, v95, v0 dst_sel:DWORD dst_unused:UNUSED_PAD src0_sel:WORD_1 src1_sel:DWORD
	v_pk_mul_f16 v134, v37, s37
	v_add_f16_e32 v76, v76, v121
	v_mul_f16_e32 v121, 0x3a95, v44
	v_pk_fma_f16 v24, v35, s30, v133 op_sel:[0,0,1] op_sel_hi:[1,1,0] neg_lo:[1,0,0] neg_hi:[1,0,0]
	v_add_f16_e32 v22, v23, v22
	v_add_f16_sdwa v17, v97, v17 dst_sel:DWORD dst_unused:UNUSED_PAD src0_sel:WORD_1 src1_sel:DWORD
	v_pk_fma_f16 v98, v35, s30, v133 op_sel:[0,0,1] op_sel_hi:[1,1,0]
	v_pk_mul_f16 v135, v40, s38
	v_mul_f16_e32 v107, 0x3770, v44
	v_fma_f16 v77, v123, s14, -v121
	v_pk_fma_f16 v25, v38, s31, v134 op_sel:[0,0,1] op_sel_hi:[1,1,0] neg_lo:[1,0,0] neg_hi:[1,0,0]
	v_add_f16_e32 v22, v24, v22
	v_add_f16_sdwa v17, v98, v17 dst_sel:DWORD dst_unused:UNUSED_PAD src0_sel:WORD_1 src1_sel:DWORD
	v_pk_fma_f16 v100, v38, s31, v134 op_sel:[0,0,1] op_sel_hi:[1,1,0]
	v_pk_mul_f16 v136, v43, s40
	v_fma_f16 v75, v123, s13, -v107
	v_add_f16_e32 v77, v77, v122
	v_mul_f16_e32 v122, 0xbb7b, v44
	v_pk_fma_f16 v26, v42, s35, v135 op_sel:[0,0,1] op_sel_hi:[1,1,0] neg_lo:[1,0,0] neg_hi:[1,0,0]
	v_add_f16_e32 v22, v25, v22
	v_add_f16_sdwa v17, v100, v17 dst_sel:DWORD dst_unused:UNUSED_PAD src0_sel:WORD_1 src1_sel:DWORD
	v_pk_fma_f16 v101, v42, s35, v135 op_sel:[0,0,1] op_sel_hi:[1,1,0]
	v_add_f16_e32 v75, v75, v79
	v_fma_f16 v79, v123, s15, -v122
	v_pk_fma_f16 v27, v44, s39, v136 op_sel:[0,0,1] op_sel_hi:[1,1,0] neg_lo:[1,0,0] neg_hi:[1,0,0]
	v_add_f16_e32 v22, v26, v22
	v_mul_f16_sdwa v28, v44, s16 dst_sel:DWORD dst_unused:UNUSED_PAD src0_sel:WORD_1 src1_sel:DWORD
	v_add_f16_sdwa v17, v101, v17 dst_sel:DWORD dst_unused:UNUSED_PAD src0_sel:WORD_1 src1_sel:DWORD
	v_pk_fma_f16 v102, v44, s39, v136 op_sel:[0,0,1] op_sel_hi:[1,1,0]
	v_add_f16_e32 v78, v79, v78
	v_add_f16_e32 v79, v27, v22
	v_fma_f16 v22, v43, s15, v28
	v_add_co_u32_e64 v74, s[0:1], 13, v58
	v_add_f16_sdwa v17, v102, v17 dst_sel:DWORD dst_unused:UNUSED_PAD src0_sel:WORD_1 src1_sel:DWORD
	v_add_f16_e32 v22, v22, v130
	v_mul_u32_u24_e32 v74, 13, v74
	s_and_saveexec_b64 s[0:1], vcc
	s_cbranch_execz .LBB0_7
; %bb.6:
	v_mul_f16_e32 v127, 0x2fb7, v30
	v_mul_f16_e32 v129, 0xb5ac, v30
	v_alignbit_b32 v124, v0, v0, 16
	v_mul_f16_e32 v134, 0xbbc4, v32
	v_mul_f16_e32 v136, 0xb9fd, v32
	v_sub_f16_e32 v39, v129, v39
	v_sub_f16_e32 v36, v127, v36
	v_mul_f16_e32 v141, 0xb5ac, v34
	v_mul_f16_e32 v143, 0x3b15, v34
	v_add_f16_e32 v39, v39, v0
	v_sub_f16_e32 v47, v136, v47
	v_add_f16_e32 v36, v36, v0
	v_sub_f16_e32 v41, v134, v41
	v_pk_add_f16 v1, v1, v124 op_sel:[0,1] op_sel_hi:[1,0]
	v_mul_f16_e32 v148, 0x3b15, v37
	v_mul_f16_e32 v150, 0x2fb7, v37
	v_add_f16_e32 v39, v47, v39
	v_sub_f16_e32 v47, v143, v49
	v_add_f16_e32 v36, v41, v36
	v_sub_f16_e32 v41, v141, v48
	v_pk_add_f16 v1, v10, v1
	v_mul_f16_e32 v155, 0x388b, v40
	v_mul_f16_e32 v157, 0xbbc4, v40
	v_add_f16_e32 v39, v47, v39
	v_sub_f16_e32 v47, v150, v51
	v_add_f16_e32 v36, v41, v36
	v_sub_f16_e32 v41, v148, v50
	v_pk_add_f16 v1, v11, v1
	;; [unrolled: 7-line block ×3, first 2 shown]
	v_mul_f16_e32 v125, 0x3b15, v30
	v_mul_f16_e32 v126, 0x388b, v110
	;; [unrolled: 1-line block ×6, first 2 shown]
	v_add_f16_e32 v39, v47, v39
	v_sub_f16_e32 v47, v164, v55
	v_add_f16_e32 v36, v41, v36
	v_sub_f16_e32 v41, v162, v54
	v_pk_add_f16 v1, v9, v1
	v_mul_f16_e32 v132, 0x388b, v32
	v_add_f16_e32 v104, v104, v110
	v_sub_f16_e32 v94, v131, v94
	v_add_f16_e32 v90, v90, v130
	v_add_f16_e32 v39, v47, v39
	;; [unrolled: 1-line block ×5, first 2 shown]
	v_sub_f16_e32 v19, v125, v19
	v_pk_add_f16 v1, v6, v1
	v_mul_f16_e32 v139, 0x2fb7, v34
	v_add_f16_sdwa v104, v104, v0 dst_sel:DWORD dst_unused:UNUSED_PAD src0_sel:DWORD src1_sel:WORD_1
	v_add_f16_e32 v94, v94, v0
	v_add_f16_sdwa v90, v90, v0 dst_sel:DWORD dst_unused:UNUSED_PAD src0_sel:DWORD src1_sel:WORD_1
	v_add_f16_sdwa v47, v47, v0 dst_sel:DWORD dst_unused:UNUSED_PAD src0_sel:DWORD src1_sel:WORD_1
	;; [unrolled: 1-line block ×3, first 2 shown]
	v_add_f16_e32 v0, v19, v0
	v_sub_f16_e32 v19, v132, v20
	v_pk_add_f16 v1, v7, v1
	v_mul_f16_e32 v146, 0xb5ac, v37
	v_add_f16_e32 v0, v19, v0
	v_sub_f16_e32 v19, v139, v81
	v_pk_add_f16 v1, v4, v1
	v_mul_f16_e32 v153, 0xb9fd, v40
	;; [unrolled: 4-line block ×3, first 2 shown]
	v_add_f16_e32 v0, v19, v0
	v_sub_f16_e32 v19, v153, v86
	v_pk_add_f16 v1, v2, v1
	v_add_f16_e32 v0, v19, v0
	v_sub_f16_e32 v19, v160, v89
	v_pk_add_f16 v1, v3, v1
	v_mul_f16_e32 v133, 0xb5ac, v109
	v_bfi_b32 v21, s24, v95, v21
	v_add_f16_e32 v0, v19, v0
	v_lshl_add_u32 v19, v74, 2, v72
	v_pk_add_f16 v1, v29, v1
	v_mul_f16_e32 v135, 0xbbc4, v109
	v_mul_f16_e32 v137, 0xb9fd, v109
	;; [unrolled: 1-line block ×3, first 2 shown]
	v_add_f16_e32 v48, v80, v133
	v_bfi_b32 v23, s24, v97, v23
	ds_write_b32 v19, v1
	v_pk_add_f16 v1, v21, v124
	v_mul_f16_e32 v142, 0xb5ac, v115
	v_mul_f16_e32 v144, 0x3b15, v115
	;; [unrolled: 1-line block ×3, first 2 shown]
	v_add_f16_e32 v91, v91, v137
	v_add_f16_e32 v49, v85, v135
	;; [unrolled: 1-line block ×4, first 2 shown]
	v_bfi_b32 v24, s24, v98, v24
	v_pk_add_f16 v1, v23, v1
	v_mul_f16_e32 v149, 0x3b15, v118
	v_mul_f16_e32 v151, 0x2fb7, v118
	v_mul_f16_e32 v154, 0x2fb7, v120
	v_add_f16_e32 v90, v91, v90
	v_add_f16_e32 v91, v99, v144
	;; [unrolled: 1-line block ×6, first 2 shown]
	v_bfi_b32 v25, s24, v100, v25
	v_pk_add_f16 v1, v24, v1
	v_mul_f16_e32 v156, 0x388b, v120
	v_mul_f16_e32 v158, 0xbbc4, v120
	;; [unrolled: 1-line block ×3, first 2 shown]
	v_add_f16_e32 v90, v91, v90
	v_add_f16_e32 v91, v108, v151
	;; [unrolled: 1-line block ×6, first 2 shown]
	v_bfi_b32 v26, s24, v101, v26
	v_pk_add_f16 v1, v25, v1
	v_mul_f16_e32 v163, 0xb9fd, v123
	v_mul_f16_e32 v165, 0x388b, v123
	v_add_f16_e32 v90, v91, v90
	v_add_f16_e32 v91, v113, v158
	;; [unrolled: 1-line block ×6, first 2 shown]
	v_bfi_b32 v27, s24, v102, v27
	v_pk_add_f16 v1, v26, v1
	v_add_f16_e32 v90, v91, v90
	v_add_f16_e32 v91, v121, v165
	;; [unrolled: 1-line block ×5, first 2 shown]
	v_pk_add_f16 v1, v27, v1
	v_add_f16_e32 v90, v91, v90
	v_add_f16_e32 v47, v49, v47
	v_alignbit_b32 v2, v41, v1, 16
	v_pack_b32_f16 v0, v0, v1
	ds_write2_b32 v19, v0, v2 offset0:1 offset1:2
	v_pack_b32_f16 v0, v39, v90
	v_pack_b32_f16 v1, v36, v47
	ds_write2_b32 v19, v1, v0 offset0:3 offset1:4
	v_pk_mul_f16 v0, v31, s20 op_sel_hi:[1,0]
	v_pk_fma_f16 v1, v30, s19, v0 op_sel:[0,0,1] op_sel_hi:[1,0,0] neg_lo:[0,0,1] neg_hi:[0,0,1]
	v_pk_fma_f16 v0, v30, s19, v0 op_sel:[0,0,1] op_sel_hi:[1,0,0]
	v_pk_mul_f16 v3, v33, s21 op_sel_hi:[1,0]
	v_bfi_b32 v2, s24, v1, v0
	v_pk_fma_f16 v4, v32, s13, v3 op_sel:[0,0,1] op_sel_hi:[1,0,0] neg_lo:[0,0,1] neg_hi:[0,0,1]
	v_pk_fma_f16 v3, v32, s13, v3 op_sel:[0,0,1] op_sel_hi:[1,0,0]
	v_pk_add_f16 v2, v2, v124 op_sel:[0,1] op_sel_hi:[1,0]
	v_bfi_b32 v5, s24, v4, v3
	v_pk_add_f16 v2, v5, v2
	v_pk_mul_f16 v5, v35, s18 op_sel_hi:[1,0]
	v_pk_fma_f16 v6, v34, s17, v5 op_sel:[0,0,1] op_sel_hi:[1,0,0] neg_lo:[0,0,1] neg_hi:[0,0,1]
	v_pk_fma_f16 v5, v34, s17, v5 op_sel:[0,0,1] op_sel_hi:[1,0,0]
	v_bfi_b32 v7, s24, v6, v5
	v_pk_add_f16 v2, v7, v2
	v_pk_mul_f16 v7, v38, s22 op_sel_hi:[1,0]
	v_pk_fma_f16 v8, v37, s14, v7 op_sel:[0,0,1] op_sel_hi:[1,0,0] neg_lo:[0,0,1] neg_hi:[0,0,1]
	v_pk_fma_f16 v7, v37, s14, v7 op_sel:[0,0,1] op_sel_hi:[1,0,0]
	v_bfi_b32 v9, s24, v8, v7
	v_pk_add_f16 v2, v9, v2
	v_pk_mul_f16 v9, v42, s16 op_sel_hi:[1,0]
	v_bfi_b32 v0, s24, v0, v1
	v_mul_f16_e32 v138, 0x2fb7, v32
	v_mul_f16_e32 v109, 0x2fb7, v109
	v_pk_fma_f16 v10, v40, s15, v9 op_sel:[0,0,1] op_sel_hi:[1,0,0] neg_lo:[0,0,1] neg_hi:[0,0,1]
	v_pk_fma_f16 v9, v40, s15, v9 op_sel:[0,0,1] op_sel_hi:[1,0,0]
	v_pk_add_f16 v0, v0, v124 op_sel:[0,1] op_sel_hi:[1,0]
	v_bfi_b32 v1, s24, v3, v4
	v_mul_f16_e32 v145, 0x388b, v34
	v_mul_f16_e32 v115, 0x388b, v115
	v_add_f16_e32 v105, v105, v109
	v_sub_f16_e32 v96, v138, v96
	v_bfi_b32 v11, s24, v10, v9
	v_pk_add_f16 v0, v1, v0
	v_bfi_b32 v1, s24, v5, v6
	v_mul_f16_e32 v152, 0xbbc4, v37
	v_mul_f16_e32 v118, 0xbbc4, v118
	v_add_f16_e32 v104, v105, v104
	v_add_f16_e32 v105, v111, v115
	;; [unrolled: 1-line block ×3, first 2 shown]
	v_sub_f16_e32 v96, v145, v106
	v_pk_add_f16 v2, v11, v2
	v_pk_mul_f16 v11, v44, s28 op_sel_hi:[1,0]
	v_pk_add_f16 v0, v1, v0
	v_bfi_b32 v1, s24, v7, v8
	v_mul_f16_e32 v159, 0x3b15, v40
	v_mul_f16_e32 v120, 0x3b15, v120
	v_add_f16_e32 v104, v105, v104
	v_add_f16_e32 v105, v116, v118
	v_add_f16_e32 v94, v96, v94
	v_sub_f16_e32 v96, v152, v112
	v_pk_fma_f16 v20, v43, s12, v11 op_sel:[0,0,1] op_sel_hi:[1,0,0] neg_lo:[0,0,1] neg_hi:[0,0,1]
	v_pk_fma_f16 v11, v43, s12, v11 op_sel:[0,0,1] op_sel_hi:[1,0,0]
	v_pk_add_f16 v0, v1, v0
	v_bfi_b32 v1, s24, v9, v10
	v_mul_f16_e32 v166, 0xb5ac, v43
	v_mul_f16_e32 v123, 0xb5ac, v123
	v_add_f16_e32 v104, v105, v104
	v_add_f16_e32 v105, v119, v120
	;; [unrolled: 1-line block ×3, first 2 shown]
	v_sub_f16_e32 v96, v159, v117
	v_pk_add_f16 v0, v1, v0
	v_bfi_b32 v1, s24, v11, v20
	s_mov_b32 s12, 0x5040100
	v_add_f16_e32 v104, v105, v104
	v_add_f16_e32 v105, v122, v123
	;; [unrolled: 1-line block ×3, first 2 shown]
	v_sub_f16_e32 v28, v166, v28
	v_pk_add_f16 v0, v1, v0
	v_perm_b32 v1, v78, v22, s12
	v_add_f16_e32 v104, v105, v104
	v_add_f16_e32 v28, v28, v94
	v_bfi_b32 v21, s24, v20, v11
	ds_write2_b32 v19, v0, v1 offset0:7 offset1:8
	v_perm_b32 v0, v76, v16, s12
	v_perm_b32 v1, v77, v15, s12
	v_pk_add_f16 v2, v21, v2
	v_pack_b32_f16 v21, v28, v104
	ds_write2_b32 v19, v1, v0 offset0:9 offset1:10
	v_perm_b32 v0, v79, v18, s12
	v_perm_b32 v1, v75, v17, s12
	ds_write2_b32 v19, v21, v2 offset0:5 offset1:6
	ds_write2_b32 v19, v1, v0 offset0:11 offset1:12
.LBB0_7:
	s_or_b64 exec, exec, s[0:1]
	v_add_u16_e32 v4, 26, v58
	s_movk_i32 s0, 0x4f
	v_mul_lo_u16_sdwa v5, v4, s0 dst_sel:DWORD dst_unused:UNUSED_PAD src0_sel:BYTE_0 src1_sel:DWORD
	v_lshrrev_b16_e32 v5, 10, v5
	v_mul_lo_u16_e32 v5, 13, v5
	v_sub_u16_e32 v21, v4, v5
	v_add_u16_e32 v5, 39, v58
	v_mul_lo_u16_sdwa v6, v5, s0 dst_sel:DWORD dst_unused:UNUSED_PAD src0_sel:BYTE_0 src1_sel:DWORD
	v_lshlrev_b16_e32 v4, 1, v21
	v_lshrrev_b16_e32 v6, 10, v6
	v_lshlrev_b32_e32 v0, 3, v58
	v_and_b32_e32 v4, 0xfe, v4
	v_mul_lo_u16_e32 v6, 13, v6
	s_waitcnt lgkmcnt(0)
	; wave barrier
	s_waitcnt lgkmcnt(0)
	global_load_dwordx2 v[19:20], v0, s[4:5]
	v_lshlrev_b32_e32 v4, 2, v4
	v_sub_u16_e32 v41, v5, v6
	ds_read2_b32 v[0:1], v57 offset1:13
	ds_read2_b32 v[2:3], v57 offset0:78 offset1:91
	global_load_dwordx2 v[23:24], v4, s[4:5]
	v_lshlrev_b16_e32 v4, 1, v41
	v_add_u16_e32 v5, 52, v58
	v_and_b32_e32 v4, 0xfe, v4
	v_mul_lo_u16_sdwa v6, v5, s0 dst_sel:DWORD dst_unused:UNUSED_PAD src0_sel:BYTE_0 src1_sel:DWORD
	v_lshlrev_b32_e32 v4, 2, v4
	v_lshrrev_b16_e32 v6, 10, v6
	global_load_dwordx2 v[27:28], v4, s[4:5]
	v_mul_lo_u16_e32 v4, 13, v6
	v_sub_u16_e32 v42, v5, v4
	v_lshlrev_b16_e32 v4, 1, v42
	v_and_b32_e32 v4, 0xfe, v4
	v_lshlrev_b32_e32 v4, 2, v4
	global_load_dwordx2 v[25:26], v4, s[4:5]
	v_add_u16_e32 v4, 0x41, v58
	v_mul_lo_u16_sdwa v5, v4, s0 dst_sel:DWORD dst_unused:UNUSED_PAD src0_sel:BYTE_0 src1_sel:DWORD
	v_lshrrev_b16_e32 v5, 10, v5
	v_mul_lo_u16_e32 v5, 13, v5
	v_sub_u16_e32 v43, v4, v5
	v_lshlrev_b16_e32 v4, 1, v43
	v_and_b32_e32 v4, 0xfe, v4
	v_lshlrev_b32_e32 v4, 2, v4
	v_add_u16_e32 v5, 0x4e, v58
	global_load_dwordx2 v[29:30], v4, s[4:5]
	v_mul_lo_u16_sdwa v4, v5, s0 dst_sel:DWORD dst_unused:UNUSED_PAD src0_sel:BYTE_0 src1_sel:DWORD
	v_lshrrev_b16_e32 v4, 10, v4
	v_mul_lo_u16_e32 v4, 13, v4
	v_sub_u16_e32 v44, v5, v4
	v_lshlrev_b16_e32 v4, 1, v44
	v_and_b32_e32 v4, 0xfe, v4
	v_lshlrev_b32_e32 v4, 2, v4
	global_load_dwordx2 v[31:32], v4, s[4:5]
	ds_read2_b32 v[4:5], v57 offset0:182 offset1:195
	ds_read2_b32 v[6:7], v57 offset0:104 offset1:117
	s_waitcnt lgkmcnt(2)
	v_lshrrev_b32_e32 v48, 16, v3
	ds_read2_b32 v[10:11], v57 offset0:208 offset1:221
	ds_read2_b32 v[33:34], v57 offset0:130 offset1:143
	s_waitcnt lgkmcnt(3)
	v_lshrrev_b32_e32 v49, 16, v4
	s_waitcnt lgkmcnt(2)
	v_lshrrev_b32_e32 v51, 16, v6
	v_lshrrev_b32_e32 v52, 16, v5
	;; [unrolled: 1-line block ×3, first 2 shown]
	s_waitcnt lgkmcnt(1)
	v_lshrrev_b32_e32 v55, 16, v10
	s_waitcnt lgkmcnt(0)
	v_lshrrev_b32_e32 v80, 16, v33
	ds_read2_b32 v[37:38], v57 offset0:234 offset1:247
	v_lshrrev_b32_e32 v81, 16, v11
	ds_read2_b32 v[39:40], v57 offset0:156 offset1:169
	v_lshrrev_b32_e32 v83, 16, v34
	ds_read_b32 v86, v57 offset:1040
	s_waitcnt lgkmcnt(2)
	v_lshrrev_b32_e32 v84, 16, v37
	v_lshrrev_b32_e32 v88, 16, v38
	s_waitcnt lgkmcnt(1)
	v_lshrrev_b32_e32 v87, 16, v39
	v_lshrrev_b32_e32 v90, 16, v40
	;; [unrolled: 3-line block ×3, first 2 shown]
	s_movk_i32 s0, 0x3aee
	s_mov_b32 s1, 0xbaee
	ds_read2_b32 v[8:9], v57 offset0:26 offset1:39
	v_lshrrev_b32_e32 v50, 16, v1
	ds_read2_b32 v[35:36], v57 offset0:52 offset1:65
	v_lshrrev_b32_e32 v89, 16, v2
	s_waitcnt lgkmcnt(0)
	v_lshrrev_b32_e32 v53, 16, v8
	v_lshrrev_b32_e32 v56, 16, v9
	;; [unrolled: 1-line block ×4, first 2 shown]
	; wave barrier
	s_mov_b32 s12, 0xb9e0
	s_movk_i32 s13, 0x3574
	s_mov_b32 s14, 0xb574
	s_movk_i32 s15, 0x370e
	s_waitcnt vmcnt(5)
	v_mul_f16_sdwa v92, v48, v19 dst_sel:DWORD dst_unused:UNUSED_PAD src0_sel:DWORD src1_sel:WORD_1
	v_fma_f16 v92, v3, v19, -v92
	v_mul_f16_sdwa v3, v3, v19 dst_sel:DWORD dst_unused:UNUSED_PAD src0_sel:DWORD src1_sel:WORD_1
	v_fma_f16 v3, v48, v19, v3
	v_mul_f16_sdwa v48, v49, v20 dst_sel:DWORD dst_unused:UNUSED_PAD src0_sel:DWORD src1_sel:WORD_1
	v_fma_f16 v48, v4, v20, -v48
	v_mul_f16_sdwa v4, v4, v20 dst_sel:DWORD dst_unused:UNUSED_PAD src0_sel:DWORD src1_sel:WORD_1
	v_fma_f16 v4, v49, v20, v4
	;; [unrolled: 4-line block ×4, first 2 shown]
	s_waitcnt vmcnt(4)
	v_mul_f16_sdwa v52, v54, v23 dst_sel:DWORD dst_unused:UNUSED_PAD src0_sel:DWORD src1_sel:WORD_1
	v_fma_f16 v52, v7, v23, -v52
	v_mul_f16_sdwa v7, v7, v23 dst_sel:DWORD dst_unused:UNUSED_PAD src0_sel:DWORD src1_sel:WORD_1
	v_fma_f16 v7, v54, v23, v7
	v_mul_f16_sdwa v54, v55, v24 dst_sel:DWORD dst_unused:UNUSED_PAD src0_sel:DWORD src1_sel:WORD_1
	v_fma_f16 v54, v10, v24, -v54
	v_mul_f16_sdwa v10, v10, v24 dst_sel:DWORD dst_unused:UNUSED_PAD src0_sel:DWORD src1_sel:WORD_1
	v_fma_f16 v10, v55, v24, v10
	s_waitcnt vmcnt(3)
	v_mul_f16_sdwa v55, v80, v27 dst_sel:DWORD dst_unused:UNUSED_PAD src0_sel:DWORD src1_sel:WORD_1
	v_fma_f16 v55, v33, v27, -v55
	v_mul_f16_sdwa v33, v33, v27 dst_sel:DWORD dst_unused:UNUSED_PAD src0_sel:DWORD src1_sel:WORD_1
	v_fma_f16 v33, v80, v27, v33
	v_mul_f16_sdwa v80, v81, v28 dst_sel:DWORD dst_unused:UNUSED_PAD src0_sel:DWORD src1_sel:WORD_1
	v_fma_f16 v80, v11, v28, -v80
	v_mul_f16_sdwa v11, v11, v28 dst_sel:DWORD dst_unused:UNUSED_PAD src0_sel:DWORD src1_sel:WORD_1
	v_fma_f16 v11, v81, v28, v11
	;; [unrolled: 9-line block ×4, first 2 shown]
	s_waitcnt vmcnt(0)
	v_mul_f16_sdwa v88, v90, v31 dst_sel:DWORD dst_unused:UNUSED_PAD src0_sel:DWORD src1_sel:WORD_1
	v_fma_f16 v88, v40, v31, -v88
	v_mul_f16_sdwa v40, v40, v31 dst_sel:DWORD dst_unused:UNUSED_PAD src0_sel:DWORD src1_sel:WORD_1
	v_fma_f16 v40, v90, v31, v40
	v_mul_f16_sdwa v90, v91, v32 dst_sel:DWORD dst_unused:UNUSED_PAD src0_sel:DWORD src1_sel:WORD_1
	v_fma_f16 v90, v86, v32, -v90
	v_mul_f16_sdwa v86, v86, v32 dst_sel:DWORD dst_unused:UNUSED_PAD src0_sel:DWORD src1_sel:WORD_1
	v_add_f16_e32 v93, v92, v48
	v_fma_f16 v86, v91, v32, v86
	v_add_f16_e32 v91, v0, v92
	v_fma_f16 v0, v93, -0.5, v0
	v_sub_f16_e32 v93, v3, v4
	v_fma_f16 v94, v93, s0, v0
	v_fma_f16 v0, v93, s1, v0
	v_add_f16_e32 v93, v47, v3
	v_add_f16_e32 v3, v3, v4
	;; [unrolled: 1-line block ×4, first 2 shown]
	v_fma_f16 v3, v3, -0.5, v47
	v_sub_f16_e32 v4, v92, v48
	v_add_f16_e32 v48, v49, v51
	v_fma_f16 v47, v4, s1, v3
	v_fma_f16 v3, v4, s0, v3
	v_add_f16_e32 v4, v1, v49
	v_fma_f16 v1, v48, -0.5, v1
	v_sub_f16_e32 v48, v6, v5
	v_fma_f16 v92, v48, s0, v1
	v_fma_f16 v1, v48, s1, v1
	v_add_f16_e32 v48, v50, v6
	v_add_f16_e32 v48, v48, v5
	;; [unrolled: 1-line block ×3, first 2 shown]
	v_fma_f16 v5, v5, -0.5, v50
	v_sub_f16_e32 v6, v49, v51
	v_add_f16_e32 v50, v52, v54
	v_fma_f16 v49, v6, s1, v5
	v_fma_f16 v5, v6, s0, v5
	v_add_f16_e32 v6, v8, v52
	v_fma_f16 v8, v50, -0.5, v8
	v_sub_f16_e32 v50, v7, v10
	v_add_f16_e32 v4, v4, v51
	v_fma_f16 v51, v50, s0, v8
	v_fma_f16 v8, v50, s1, v8
	v_add_f16_e32 v50, v53, v7
	v_add_f16_e32 v7, v7, v10
	;; [unrolled: 1-line block ×3, first 2 shown]
	v_fma_f16 v7, v7, -0.5, v53
	v_sub_f16_e32 v10, v52, v54
	v_add_f16_e32 v53, v55, v80
	v_fma_f16 v52, v10, s1, v7
	v_fma_f16 v7, v10, s0, v7
	v_add_f16_e32 v10, v9, v55
	v_fma_f16 v9, v53, -0.5, v9
	v_sub_f16_e32 v53, v33, v11
	v_add_f16_e32 v6, v6, v54
	v_fma_f16 v54, v53, s0, v9
	v_fma_f16 v9, v53, s1, v9
	v_add_f16_e32 v53, v56, v33
	v_add_f16_e32 v53, v53, v11
	;; [unrolled: 1-line block ×3, first 2 shown]
	v_fma_f16 v11, v11, -0.5, v56
	v_sub_f16_e32 v33, v55, v80
	v_add_f16_e32 v56, v81, v83
	v_fma_f16 v55, v33, s1, v11
	v_fma_f16 v11, v33, s0, v11
	v_add_f16_e32 v33, v35, v81
	v_fma_f16 v35, v56, -0.5, v35
	v_sub_f16_e32 v56, v34, v37
	v_fma_f16 v95, v56, s0, v35
	v_fma_f16 v35, v56, s1, v35
	v_add_f16_e32 v56, v82, v34
	v_add_f16_e32 v34, v34, v37
	;; [unrolled: 1-line block ×4, first 2 shown]
	v_fma_f16 v34, v34, -0.5, v82
	v_sub_f16_e32 v37, v81, v83
	v_add_f16_e32 v80, v84, v87
	v_add_f16_e32 v33, v33, v83
	v_fma_f16 v83, v37, s1, v34
	v_fma_f16 v34, v37, s0, v34
	v_add_f16_e32 v37, v36, v84
	v_fma_f16 v36, v80, -0.5, v36
	v_sub_f16_e32 v80, v39, v38
	v_fma_f16 v96, v80, s0, v36
	v_fma_f16 v36, v80, s1, v36
	v_add_f16_e32 v80, v85, v39
	v_add_f16_e32 v97, v80, v38
	;; [unrolled: 1-line block ×3, first 2 shown]
	v_fma_f16 v38, v38, -0.5, v85
	v_sub_f16_e32 v39, v84, v87
	v_add_f16_e32 v80, v88, v90
	v_fma_f16 v84, v39, s1, v38
	v_fma_f16 v38, v39, s0, v38
	v_add_f16_e32 v39, v2, v88
	v_fma_f16 v2, v80, -0.5, v2
	v_sub_f16_e32 v80, v40, v86
	v_fma_f16 v85, v80, s0, v2
	v_fma_f16 v2, v80, s1, v2
	v_add_f16_e32 v80, v89, v40
	v_add_f16_e32 v40, v40, v86
	v_pack_b32_f16 v0, v0, v3
	v_pack_b32_f16 v3, v4, v48
	v_add_f16_e32 v37, v37, v87
	v_add_f16_e32 v87, v80, v86
	v_fma_f16 v40, v40, -0.5, v89
	v_sub_f16_e32 v80, v88, v90
	ds_write2_b32 v57, v0, v3 offset0:26 offset1:39
	v_pack_b32_f16 v0, v92, v49
	v_pack_b32_f16 v1, v1, v5
	v_fma_f16 v86, v80, s1, v40
	v_fma_f16 v40, v80, s0, v40
	v_pack_b32_f16 v80, v91, v93
	v_pack_b32_f16 v47, v94, v47
	ds_write2_b32 v57, v0, v1 offset0:52 offset1:65
	v_and_b32_e32 v0, 0xff, v21
	ds_write2_b32 v57, v80, v47 offset1:13
	v_lshl_add_u32 v80, v0, 2, v72
	v_pack_b32_f16 v0, v6, v50
	v_pack_b32_f16 v1, v51, v52
	ds_write2_b32 v80, v0, v1 offset0:78 offset1:91
	v_pack_b32_f16 v0, v8, v7
	ds_write_b32 v80, v0 offset:416
	v_and_b32_e32 v0, 0xff, v41
	v_lshl_add_u32 v81, v0, 2, v72
	v_pack_b32_f16 v0, v10, v53
	v_pack_b32_f16 v1, v54, v55
	ds_write2_b32 v81, v0, v1 offset0:117 offset1:130
	v_pack_b32_f16 v0, v9, v11
	ds_write_b32 v81, v0 offset:572
	v_and_b32_e32 v0, 0xff, v42
	v_lshl_add_u32 v82, v0, 2, v72
	v_pack_b32_f16 v0, v33, v56
	v_pack_b32_f16 v1, v95, v83
	ds_write2_b32 v82, v0, v1 offset0:156 offset1:169
	v_pack_b32_f16 v0, v35, v34
	ds_write_b32 v82, v0 offset:728
	v_and_b32_e32 v0, 0xff, v43
	v_lshl_add_u32 v83, v0, 2, v72
	v_pack_b32_f16 v0, v37, v97
	v_pack_b32_f16 v1, v96, v84
	ds_write2_b32 v83, v0, v1 offset0:195 offset1:208
	v_pack_b32_f16 v0, v36, v38
	v_mad_u64_u32 v[37:38], s[0:1], v58, 24, s[4:5]
	v_add_f16_e32 v39, v39, v90
	ds_write_b32 v83, v0 offset:884
	v_and_b32_e32 v0, 0xff, v44
	v_lshl_add_u32 v84, v0, 2, v72
	v_pack_b32_f16 v0, v39, v87
	v_pack_b32_f16 v1, v85, v86
	ds_write2_b32 v84, v0, v1 offset0:234 offset1:247
	v_pack_b32_f16 v0, v2, v40
	ds_write_b32 v84, v0 offset:1040
	s_waitcnt lgkmcnt(0)
	; wave barrier
	s_waitcnt lgkmcnt(0)
	global_load_dwordx4 v[0:3], v[37:38], off offset:104
	global_load_dwordx2 v[33:34], v[37:38], off offset:120
	global_load_dwordx4 v[4:7], v[37:38], off offset:416
	global_load_dwordx2 v[35:36], v[37:38], off offset:432
	global_load_dwordx4 v[8:11], v[37:38], off offset:728
	ds_read2_b32 v[40:41], v57 offset0:26 offset1:39
	ds_read2_b32 v[42:43], v57 offset1:13
	ds_read2_b32 v[47:48], v57 offset0:78 offset1:91
	ds_read2_b32 v[49:50], v57 offset0:104 offset1:117
	;; [unrolled: 1-line block ×7, first 2 shown]
	global_load_dwordx2 v[37:38], v[37:38], off offset:744
	s_waitcnt lgkmcnt(8)
	v_lshrrev_b32_e32 v21, 16, v41
	s_waitcnt lgkmcnt(6)
	v_lshrrev_b32_e32 v39, 16, v47
	;; [unrolled: 2-line block ×7, first 2 shown]
	v_lshrrev_b32_e32 v95, 16, v48
	ds_read2_b32 v[89:90], v57 offset0:208 offset1:221
	s_waitcnt lgkmcnt(1)
	v_lshrrev_b32_e32 v96, 16, v87
	v_lshrrev_b32_e32 v97, 16, v52
	;; [unrolled: 1-line block ×4, first 2 shown]
	s_waitcnt lgkmcnt(0)
	v_lshrrev_b32_e32 v98, 16, v89
	v_lshrrev_b32_e32 v102, 16, v49
	ds_read_b32 v101, v57 offset:1040
	v_lshrrev_b32_e32 v103, 16, v88
	v_lshrrev_b32_e32 v104, 16, v53
	;; [unrolled: 1-line block ×3, first 2 shown]
	s_movk_i32 s0, 0x2b26
	s_waitcnt lgkmcnt(0)
	v_lshrrev_b32_e32 v106, 16, v101
	s_movk_i32 s1, 0x3b00
	s_mov_b32 s4, 0xbcab
	s_movk_i32 s5, 0x39e0
	s_waitcnt vmcnt(5)
	v_mul_f16_sdwa v107, v21, v0 dst_sel:DWORD dst_unused:UNUSED_PAD src0_sel:DWORD src1_sel:WORD_1
	v_fma_f16 v107, v41, v0, -v107
	v_mul_f16_sdwa v41, v41, v0 dst_sel:DWORD dst_unused:UNUSED_PAD src0_sel:DWORD src1_sel:WORD_1
	v_fma_f16 v21, v21, v0, v41
	v_mul_f16_sdwa v41, v39, v1 dst_sel:DWORD dst_unused:UNUSED_PAD src0_sel:DWORD src1_sel:WORD_1
	v_fma_f16 v41, v47, v1, -v41
	v_mul_f16_sdwa v47, v47, v1 dst_sel:DWORD dst_unused:UNUSED_PAD src0_sel:DWORD src1_sel:WORD_1
	v_fma_f16 v39, v39, v1, v47
	;; [unrolled: 4-line block ×4, first 2 shown]
	s_waitcnt vmcnt(4)
	v_mul_f16_sdwa v91, v92, v33 dst_sel:DWORD dst_unused:UNUSED_PAD src0_sel:DWORD src1_sel:WORD_1
	v_fma_f16 v91, v54, v33, -v91
	v_mul_f16_sdwa v54, v54, v33 dst_sel:DWORD dst_unused:UNUSED_PAD src0_sel:DWORD src1_sel:WORD_1
	v_fma_f16 v54, v92, v33, v54
	v_mul_f16_sdwa v92, v93, v34 dst_sel:DWORD dst_unused:UNUSED_PAD src0_sel:DWORD src1_sel:WORD_1
	v_fma_f16 v92, v55, v34, -v92
	v_mul_f16_sdwa v55, v55, v34 dst_sel:DWORD dst_unused:UNUSED_PAD src0_sel:DWORD src1_sel:WORD_1
	v_fma_f16 v55, v93, v34, v55
	s_waitcnt vmcnt(3)
	v_mul_f16_sdwa v93, v94, v4 dst_sel:DWORD dst_unused:UNUSED_PAD src0_sel:DWORD src1_sel:WORD_1
	v_fma_f16 v93, v85, v4, -v93
	v_mul_f16_sdwa v85, v85, v4 dst_sel:DWORD dst_unused:UNUSED_PAD src0_sel:DWORD src1_sel:WORD_1
	v_fma_f16 v85, v94, v4, v85
	v_mul_f16_sdwa v94, v95, v5 dst_sel:DWORD dst_unused:UNUSED_PAD src0_sel:DWORD src1_sel:WORD_1
	v_fma_f16 v94, v48, v5, -v94
	v_mul_f16_sdwa v48, v48, v5 dst_sel:DWORD dst_unused:UNUSED_PAD src0_sel:DWORD src1_sel:WORD_1
	v_fma_f16 v48, v95, v5, v48
	;; [unrolled: 4-line block ×4, first 2 shown]
	s_waitcnt vmcnt(2)
	v_mul_f16_sdwa v97, v98, v35 dst_sel:DWORD dst_unused:UNUSED_PAD src0_sel:DWORD src1_sel:WORD_1
	v_fma_f16 v97, v89, v35, -v97
	v_mul_f16_sdwa v89, v89, v35 dst_sel:DWORD dst_unused:UNUSED_PAD src0_sel:DWORD src1_sel:WORD_1
	v_fma_f16 v89, v98, v35, v89
	v_mul_f16_sdwa v98, v99, v36 dst_sel:DWORD dst_unused:UNUSED_PAD src0_sel:DWORD src1_sel:WORD_1
	v_fma_f16 v98, v56, v36, -v98
	v_mul_f16_sdwa v56, v56, v36 dst_sel:DWORD dst_unused:UNUSED_PAD src0_sel:DWORD src1_sel:WORD_1
	v_fma_f16 v56, v99, v36, v56
	s_waitcnt vmcnt(1)
	v_mul_f16_sdwa v99, v100, v8 dst_sel:DWORD dst_unused:UNUSED_PAD src0_sel:DWORD src1_sel:WORD_1
	v_fma_f16 v99, v86, v8, -v99
	v_mul_f16_sdwa v86, v86, v8 dst_sel:DWORD dst_unused:UNUSED_PAD src0_sel:DWORD src1_sel:WORD_1
	v_fma_f16 v100, v100, v8, v86
	v_mul_f16_sdwa v86, v102, v9 dst_sel:DWORD dst_unused:UNUSED_PAD src0_sel:DWORD src1_sel:WORD_1
	v_fma_f16 v108, v49, v9, -v86
	v_mul_f16_sdwa v49, v49, v9 dst_sel:DWORD dst_unused:UNUSED_PAD src0_sel:DWORD src1_sel:WORD_1
	v_mul_f16_sdwa v86, v103, v10 dst_sel:DWORD dst_unused:UNUSED_PAD src0_sel:DWORD src1_sel:WORD_1
	v_fma_f16 v49, v102, v9, v49
	v_fma_f16 v102, v88, v10, -v86
	v_mul_f16_sdwa v86, v88, v10 dst_sel:DWORD dst_unused:UNUSED_PAD src0_sel:DWORD src1_sel:WORD_1
	v_fma_f16 v88, v103, v10, v86
	v_mul_f16_sdwa v86, v104, v11 dst_sel:DWORD dst_unused:UNUSED_PAD src0_sel:DWORD src1_sel:WORD_1
	v_fma_f16 v103, v53, v11, -v86
	v_mul_f16_sdwa v53, v53, v11 dst_sel:DWORD dst_unused:UNUSED_PAD src0_sel:DWORD src1_sel:WORD_1
	s_waitcnt vmcnt(0)
	v_mul_f16_sdwa v86, v105, v37 dst_sel:DWORD dst_unused:UNUSED_PAD src0_sel:DWORD src1_sel:WORD_1
	v_fma_f16 v53, v104, v11, v53
	v_fma_f16 v104, v90, v37, -v86
	v_mul_f16_sdwa v86, v90, v37 dst_sel:DWORD dst_unused:UNUSED_PAD src0_sel:DWORD src1_sel:WORD_1
	v_fma_f16 v90, v105, v37, v86
	v_mul_f16_sdwa v86, v106, v38 dst_sel:DWORD dst_unused:UNUSED_PAD src0_sel:DWORD src1_sel:WORD_1
	v_fma_f16 v105, v101, v38, -v86
	v_mul_f16_sdwa v86, v101, v38 dst_sel:DWORD dst_unused:UNUSED_PAD src0_sel:DWORD src1_sel:WORD_1
	v_fma_f16 v101, v106, v38, v86
	v_add_f16_e32 v86, v107, v92
	v_add_f16_e32 v106, v21, v55
	v_sub_f16_e32 v92, v107, v92
	v_sub_f16_e32 v21, v21, v55
	v_add_f16_e32 v55, v41, v91
	v_add_f16_e32 v107, v39, v54
	v_sub_f16_e32 v41, v41, v91
	v_sub_f16_e32 v39, v39, v54
	;; [unrolled: 4-line block ×4, first 2 shown]
	v_sub_f16_e32 v86, v86, v54
	v_sub_f16_e32 v106, v106, v91
	;; [unrolled: 1-line block ×4, first 2 shown]
	v_add_f16_e32 v111, v47, v41
	v_add_f16_e32 v112, v44, v39
	v_sub_f16_e32 v113, v47, v41
	v_sub_f16_e32 v114, v44, v39
	v_sub_f16_e32 v41, v41, v92
	v_sub_f16_e32 v39, v39, v21
	v_add_f16_e32 v50, v54, v50
	v_add_f16_e32 v51, v91, v51
	v_sub_f16_e32 v47, v92, v47
	v_sub_f16_e32 v44, v21, v44
	v_add_f16_e32 v54, v111, v92
	v_add_f16_e32 v21, v112, v21
	;; [unrolled: 1-line block ×3, first 2 shown]
	v_add_f16_sdwa v112, v42, v51 dst_sel:DWORD dst_unused:UNUSED_PAD src0_sel:WORD_1 src1_sel:DWORD
	v_mul_f16_e32 v42, 0x3a52, v86
	v_mul_f16_e32 v86, 0x3a52, v106
	;; [unrolled: 1-line block ×8, first 2 shown]
	v_fma_f16 v50, v50, s4, v111
	v_fma_f16 v51, v51, s4, v112
	;; [unrolled: 1-line block ×4, first 2 shown]
	v_fma_f16 v91, v109, s5, -v91
	v_fma_f16 v92, v110, s5, -v92
	v_fma_f16 v42, v109, s12, -v42
	v_fma_f16 v86, v110, s12, -v86
	v_fma_f16 v109, v47, s13, v106
	v_fma_f16 v110, v44, s13, v113
	v_fma_f16 v39, v39, s1, -v113
	v_fma_f16 v47, v47, s14, -v114
	;; [unrolled: 1-line block ×4, first 2 shown]
	v_add_f16_e32 v55, v55, v50
	v_add_f16_e32 v91, v91, v50
	;; [unrolled: 1-line block ×4, first 2 shown]
	v_fma_f16 v86, v21, s15, v110
	v_fma_f16 v39, v21, s15, v39
	;; [unrolled: 1-line block ×4, first 2 shown]
	v_add_f16_e32 v106, v107, v51
	v_add_f16_e32 v92, v92, v51
	v_fma_f16 v51, v54, s15, v109
	v_fma_f16 v41, v54, s15, v41
	v_add_f16_e32 v54, v86, v55
	v_add_f16_e32 v109, v21, v42
	v_sub_f16_e32 v110, v50, v47
	v_sub_f16_e32 v113, v91, v39
	v_add_f16_e32 v115, v39, v91
	v_sub_f16_e32 v117, v42, v21
	v_add_f16_e32 v47, v47, v50
	;; [unrolled: 2-line block ×3, first 2 shown]
	v_add_f16_e32 v39, v85, v56
	v_add_f16_e32 v44, v94, v97
	;; [unrolled: 1-line block ×4, first 2 shown]
	v_sub_f16_e32 v116, v92, v41
	v_sub_f16_e32 v41, v93, v98
	;; [unrolled: 1-line block ×5, first 2 shown]
	v_add_f16_e32 v85, v95, v96
	v_add_f16_e32 v86, v87, v52
	v_sub_f16_e32 v89, v96, v95
	v_sub_f16_e32 v52, v52, v87
	v_add_f16_e32 v87, v44, v21
	v_add_f16_e32 v91, v55, v39
	v_sub_f16_e32 v92, v44, v21
	v_sub_f16_e32 v93, v55, v39
	;; [unrolled: 1-line block ×6, first 2 shown]
	v_add_f16_e32 v94, v89, v56
	v_add_f16_e32 v95, v52, v48
	v_sub_f16_e32 v96, v89, v56
	v_sub_f16_e32 v97, v52, v48
	;; [unrolled: 1-line block ×4, first 2 shown]
	v_add_f16_e32 v85, v85, v87
	v_add_f16_e32 v86, v86, v91
	v_sub_f16_e32 v89, v41, v89
	v_sub_f16_e32 v52, v42, v52
	v_add_f16_e32 v41, v94, v41
	v_add_f16_e32 v42, v95, v42
	;; [unrolled: 1-line block ×3, first 2 shown]
	v_add_f16_sdwa v98, v43, v86 dst_sel:DWORD dst_unused:UNUSED_PAD src0_sel:WORD_1 src1_sel:DWORD
	v_mul_f16_e32 v21, 0x3a52, v21
	v_mul_f16_e32 v39, 0x3a52, v39
	v_mul_f16_e32 v43, 0x2b26, v44
	v_mul_f16_e32 v87, 0x2b26, v55
	v_mul_f16_e32 v91, 0xb846, v96
	v_mul_f16_e32 v94, 0xb846, v97
	v_mul_f16_e32 v96, 0x3b00, v56
	v_mul_f16_e32 v97, 0x3b00, v48
	v_fma_f16 v85, v85, s4, v95
	v_fma_f16 v86, v86, s4, v98
	;; [unrolled: 1-line block ×4, first 2 shown]
	v_fma_f16 v43, v92, s5, -v43
	v_fma_f16 v87, v93, s5, -v87
	;; [unrolled: 1-line block ×4, first 2 shown]
	v_fma_f16 v92, v89, s13, v91
	v_fma_f16 v93, v52, s13, v94
	v_fma_f16 v56, v56, s1, -v91
	v_fma_f16 v48, v48, s1, -v94
	;; [unrolled: 1-line block ×4, first 2 shown]
	v_add_f16_e32 v44, v44, v85
	v_add_f16_e32 v55, v55, v86
	;; [unrolled: 1-line block ×6, first 2 shown]
	v_fma_f16 v85, v41, s15, v92
	v_fma_f16 v86, v42, s15, v93
	;; [unrolled: 1-line block ×6, first 2 shown]
	v_sub_f16_e32 v107, v106, v51
	v_add_f16_e32 v51, v51, v106
	v_add_f16_e32 v52, v86, v44
	;; [unrolled: 1-line block ×3, first 2 shown]
	v_sub_f16_e32 v106, v39, v41
	v_sub_f16_e32 v118, v43, v48
	v_add_f16_e32 v48, v48, v43
	v_sub_f16_e32 v120, v21, v42
	v_add_f16_e32 v121, v41, v39
	;; [unrolled: 2-line block ×3, first 2 shown]
	v_add_f16_e32 v39, v100, v101
	v_add_f16_e32 v43, v108, v104
	;; [unrolled: 1-line block ×3, first 2 shown]
	v_sub_f16_e32 v96, v55, v85
	v_add_f16_e32 v119, v56, v87
	v_sub_f16_e32 v56, v87, v56
	v_add_f16_e32 v87, v85, v55
	v_sub_f16_e32 v42, v100, v101
	v_sub_f16_e32 v55, v108, v104
	;; [unrolled: 1-line block ×3, first 2 shown]
	v_add_f16_e32 v85, v102, v103
	v_add_f16_e32 v89, v88, v53
	v_sub_f16_e32 v90, v103, v102
	v_sub_f16_e32 v53, v53, v88
	v_add_f16_e32 v88, v43, v21
	v_add_f16_e32 v91, v44, v39
	v_sub_f16_e32 v41, v99, v105
	v_sub_f16_e32 v92, v43, v21
	v_sub_f16_e32 v93, v44, v39
	v_sub_f16_e32 v21, v21, v85
	v_sub_f16_e32 v94, v39, v89
	v_sub_f16_e32 v43, v85, v43
	v_sub_f16_e32 v44, v89, v44
	v_add_f16_e32 v39, v90, v55
	v_add_f16_e32 v99, v53, v49
	v_sub_f16_e32 v100, v90, v55
	v_sub_f16_e32 v101, v53, v49
	;; [unrolled: 1-line block ×3, first 2 shown]
	v_add_f16_e32 v85, v85, v88
	v_add_f16_e32 v89, v89, v91
	v_sub_f16_e32 v90, v41, v90
	v_sub_f16_e32 v53, v42, v53
	v_sub_f16_e32 v55, v55, v41
	v_add_f16_e32 v41, v39, v41
	v_add_f16_e32 v42, v99, v42
	;; [unrolled: 1-line block ×3, first 2 shown]
	v_add_f16_sdwa v88, v40, v89 dst_sel:DWORD dst_unused:UNUSED_PAD src0_sel:WORD_1 src1_sel:DWORD
	v_mul_f16_e32 v21, 0x3a52, v21
	v_mul_f16_e32 v40, 0x3a52, v94
	;; [unrolled: 1-line block ×8, first 2 shown]
	v_fma_f16 v85, v85, s4, v39
	v_fma_f16 v89, v89, s4, v88
	;; [unrolled: 1-line block ×4, first 2 shown]
	v_fma_f16 v94, v93, s5, -v94
	v_fma_f16 v21, v92, s12, -v21
	;; [unrolled: 1-line block ×3, first 2 shown]
	v_fma_f16 v93, v53, s13, v100
	v_fma_f16 v55, v55, s1, -v99
	v_fma_f16 v53, v53, s14, -v102
	;; [unrolled: 1-line block ×3, first 2 shown]
	v_fma_f16 v92, v90, s13, v99
	v_fma_f16 v49, v49, s1, -v100
	v_fma_f16 v90, v90, s14, -v101
	v_add_f16_e32 v100, v44, v89
	v_add_f16_e32 v44, v94, v89
	;; [unrolled: 1-line block ×3, first 2 shown]
	v_fma_f16 v55, v41, s15, v55
	v_fma_f16 v53, v42, s15, v53
	v_add_f16_e32 v99, v43, v85
	v_add_f16_e32 v43, v91, v85
	v_fma_f16 v94, v41, s15, v92
	v_fma_f16 v101, v42, s15, v93
	;; [unrolled: 1-line block ×3, first 2 shown]
	v_add_f16_e32 v41, v53, v21
	v_add_f16_e32 v91, v55, v44
	v_sub_f16_e32 v92, v44, v55
	v_sub_f16_e32 v44, v21, v53
	v_pack_b32_f16 v53, v54, v107
	ds_write_b32 v57, v53 offset:156
	v_pack_b32_f16 v53, v109, v110
	v_pack_b32_f16 v47, v117, v47
	v_fma_f16 v49, v42, s15, v49
	ds_write_b32 v57, v53 offset:312
	v_pack_b32_f16 v53, v113, v114
	ds_write_b32 v57, v47 offset:780
	v_pack_b32_f16 v47, v50, v51
	v_sub_f16_e32 v42, v43, v49
	v_add_f16_e32 v43, v49, v43
	v_pack_b32_f16 v49, v111, v112
	ds_write_b32 v57, v53 offset:468
	v_pack_b32_f16 v53, v115, v116
	ds_write_b32 v57, v47 offset:936
	;; [unrolled: 2-line block ×3, first 2 shown]
	ds_write2_b32 v57, v49, v47 offset1:13
	v_pack_b32_f16 v47, v52, v96
	ds_write_b32 v57, v47 offset:208
	v_pack_b32_f16 v47, v97, v106
	ds_write_b32 v57, v47 offset:364
	;; [unrolled: 2-line block ×3, first 2 shown]
	v_pack_b32_f16 v47, v48, v56
	v_add_f16_e32 v85, v40, v89
	ds_write_b32 v57, v47 offset:676
	v_pack_b32_f16 v47, v120, v121
	v_add_f16_e32 v40, v101, v99
	v_sub_f16_e32 v89, v100, v94
	v_sub_f16_e32 v90, v85, v93
	v_add_f16_e32 v93, v93, v85
	ds_write_b32 v57, v47 offset:832
	v_pack_b32_f16 v47, v86, v87
	v_lshl_add_u32 v85, v46, 2, v45
	v_pack_b32_f16 v46, v39, v88
	ds_write_b32 v57, v47 offset:988
	ds_write_b32 v57, v46 offset:104
	v_pack_b32_f16 v46, v40, v89
	v_pack_b32_f16 v47, v41, v90
	v_sub_f16_e32 v21, v99, v101
	v_add_f16_e32 v94, v94, v100
	ds_write2_b32 v85, v46, v47 offset0:65 offset1:104
	v_pack_b32_f16 v46, v42, v91
	v_pack_b32_f16 v47, v43, v92
	ds_write2_b32 v85, v46, v47 offset0:143 offset1:182
	v_pack_b32_f16 v46, v44, v93
	v_pack_b32_f16 v47, v21, v94
	v_add_u32_e32 v48, 0x200, v85
	ds_write2_b32 v48, v46, v47 offset0:93 offset1:132
	s_waitcnt lgkmcnt(0)
	; wave barrier
	s_waitcnt lgkmcnt(0)
	global_load_dword v48, v[12:13], off offset:1092
	s_add_u32 s0, s2, 0x444
	s_addc_u32 s1, s3, 0
	global_load_dword v50, v45, s[0:1] offset:84
	global_load_dword v51, v45, s[0:1] offset:168
	global_load_dword v52, v45, s[0:1] offset:252
	global_load_dword v53, v45, s[0:1] offset:336
	global_load_dword v54, v45, s[0:1] offset:420
	global_load_dword v55, v45, s[0:1] offset:504
	global_load_dword v56, v45, s[0:1] offset:588
	global_load_dword v95, v45, s[0:1] offset:672
	global_load_dword v96, v45, s[0:1] offset:756
	global_load_dword v97, v45, s[0:1] offset:840
	ds_read2_b32 v[46:47], v57 offset1:21
	global_load_dword v98, v45, s[0:1] offset:924
	s_waitcnt lgkmcnt(0)
	v_lshrrev_b32_e32 v49, 16, v46
	v_lshrrev_b32_e32 v100, 16, v47
	s_waitcnt vmcnt(11)
	v_mul_f16_sdwa v99, v49, v48 dst_sel:DWORD dst_unused:UNUSED_PAD src0_sel:DWORD src1_sel:WORD_1
	v_fma_f16 v99, v46, v48, -v99
	v_mul_f16_sdwa v46, v46, v48 dst_sel:DWORD dst_unused:UNUSED_PAD src0_sel:DWORD src1_sel:WORD_1
	v_fma_f16 v46, v49, v48, v46
	v_pack_b32_f16 v46, v99, v46
	global_load_dword v99, v45, s[0:1] offset:1008
	s_waitcnt vmcnt(11)
	v_mul_f16_sdwa v48, v100, v50 dst_sel:DWORD dst_unused:UNUSED_PAD src0_sel:DWORD src1_sel:WORD_1
	v_fma_f16 v101, v47, v50, -v48
	ds_read2_b32 v[48:49], v57 offset0:42 offset1:63
	v_mul_f16_sdwa v47, v47, v50 dst_sel:DWORD dst_unused:UNUSED_PAD src0_sel:DWORD src1_sel:WORD_1
	v_fma_f16 v47, v100, v50, v47
	v_pack_b32_f16 v47, v101, v47
	ds_write2_b32 v57, v46, v47 offset1:21
	s_waitcnt lgkmcnt(1)
	v_lshrrev_b32_e32 v46, 16, v48
	s_waitcnt vmcnt(10)
	v_mul_f16_sdwa v47, v46, v51 dst_sel:DWORD dst_unused:UNUSED_PAD src0_sel:DWORD src1_sel:WORD_1
	v_fma_f16 v47, v48, v51, -v47
	v_mul_f16_sdwa v48, v48, v51 dst_sel:DWORD dst_unused:UNUSED_PAD src0_sel:DWORD src1_sel:WORD_1
	v_fma_f16 v46, v46, v51, v48
	v_lshrrev_b32_e32 v50, 16, v49
	v_pack_b32_f16 v48, v47, v46
	s_waitcnt vmcnt(9)
	v_mul_f16_sdwa v46, v50, v52 dst_sel:DWORD dst_unused:UNUSED_PAD src0_sel:DWORD src1_sel:WORD_1
	v_fma_f16 v51, v49, v52, -v46
	ds_read2_b32 v[46:47], v57 offset0:84 offset1:105
	v_mul_f16_sdwa v49, v49, v52 dst_sel:DWORD dst_unused:UNUSED_PAD src0_sel:DWORD src1_sel:WORD_1
	v_fma_f16 v49, v50, v52, v49
	v_pack_b32_f16 v49, v51, v49
	ds_write2_b32 v57, v48, v49 offset0:42 offset1:63
	s_waitcnt lgkmcnt(1)
	v_lshrrev_b32_e32 v48, 16, v46
	s_waitcnt vmcnt(8)
	v_mul_f16_sdwa v49, v48, v53 dst_sel:DWORD dst_unused:UNUSED_PAD src0_sel:DWORD src1_sel:WORD_1
	v_fma_f16 v49, v46, v53, -v49
	v_mul_f16_sdwa v46, v46, v53 dst_sel:DWORD dst_unused:UNUSED_PAD src0_sel:DWORD src1_sel:WORD_1
	v_lshrrev_b32_e32 v50, 16, v47
	v_fma_f16 v46, v48, v53, v46
	s_waitcnt vmcnt(7)
	v_mul_f16_sdwa v48, v50, v54 dst_sel:DWORD dst_unused:UNUSED_PAD src0_sel:DWORD src1_sel:WORD_1
	v_pack_b32_f16 v46, v49, v46
	v_fma_f16 v51, v47, v54, -v48
	ds_read2_b32 v[48:49], v57 offset0:126 offset1:147
	v_mul_f16_sdwa v47, v47, v54 dst_sel:DWORD dst_unused:UNUSED_PAD src0_sel:DWORD src1_sel:WORD_1
	v_fma_f16 v47, v50, v54, v47
	v_pack_b32_f16 v47, v51, v47
	ds_write2_b32 v57, v46, v47 offset0:84 offset1:105
	s_waitcnt lgkmcnt(1)
	v_lshrrev_b32_e32 v46, 16, v48
	s_waitcnt vmcnt(6)
	v_mul_f16_sdwa v47, v46, v55 dst_sel:DWORD dst_unused:UNUSED_PAD src0_sel:DWORD src1_sel:WORD_1
	v_fma_f16 v47, v48, v55, -v47
	v_mul_f16_sdwa v48, v48, v55 dst_sel:DWORD dst_unused:UNUSED_PAD src0_sel:DWORD src1_sel:WORD_1
	v_fma_f16 v46, v46, v55, v48
	v_lshrrev_b32_e32 v50, 16, v49
	v_pack_b32_f16 v48, v47, v46
	s_waitcnt vmcnt(5)
	v_mul_f16_sdwa v46, v50, v56 dst_sel:DWORD dst_unused:UNUSED_PAD src0_sel:DWORD src1_sel:WORD_1
	v_fma_f16 v51, v49, v56, -v46
	ds_read2_b32 v[46:47], v57 offset0:168 offset1:189
	v_mul_f16_sdwa v49, v49, v56 dst_sel:DWORD dst_unused:UNUSED_PAD src0_sel:DWORD src1_sel:WORD_1
	v_fma_f16 v49, v50, v56, v49
	v_pack_b32_f16 v49, v51, v49
	ds_write2_b32 v57, v48, v49 offset0:126 offset1:147
	s_waitcnt lgkmcnt(1)
	v_lshrrev_b32_e32 v48, 16, v46
	s_waitcnt vmcnt(4)
	v_mul_f16_sdwa v49, v48, v95 dst_sel:DWORD dst_unused:UNUSED_PAD src0_sel:DWORD src1_sel:WORD_1
	v_fma_f16 v49, v46, v95, -v49
	v_mul_f16_sdwa v46, v46, v95 dst_sel:DWORD dst_unused:UNUSED_PAD src0_sel:DWORD src1_sel:WORD_1
	v_lshrrev_b32_e32 v50, 16, v47
	v_fma_f16 v46, v48, v95, v46
	s_waitcnt vmcnt(3)
	v_mul_f16_sdwa v48, v50, v96 dst_sel:DWORD dst_unused:UNUSED_PAD src0_sel:DWORD src1_sel:WORD_1
	v_pack_b32_f16 v46, v49, v46
	v_fma_f16 v51, v47, v96, -v48
	ds_read2_b32 v[48:49], v57 offset0:210 offset1:231
	v_mul_f16_sdwa v47, v47, v96 dst_sel:DWORD dst_unused:UNUSED_PAD src0_sel:DWORD src1_sel:WORD_1
	v_fma_f16 v47, v50, v96, v47
	v_pack_b32_f16 v47, v51, v47
	ds_write2_b32 v57, v46, v47 offset0:168 offset1:189
	s_waitcnt lgkmcnt(1)
	v_lshrrev_b32_e32 v46, 16, v48
	s_waitcnt vmcnt(2)
	v_mul_f16_sdwa v47, v46, v97 dst_sel:DWORD dst_unused:UNUSED_PAD src0_sel:DWORD src1_sel:WORD_1
	v_fma_f16 v47, v48, v97, -v47
	v_mul_f16_sdwa v48, v48, v97 dst_sel:DWORD dst_unused:UNUSED_PAD src0_sel:DWORD src1_sel:WORD_1
	v_fma_f16 v46, v46, v97, v48
	v_pack_b32_f16 v46, v47, v46
	v_lshrrev_b32_e32 v47, 16, v49
	ds_read_b32 v50, v57 offset:1008
	s_waitcnt vmcnt(1)
	v_mul_f16_sdwa v48, v47, v98 dst_sel:DWORD dst_unused:UNUSED_PAD src0_sel:DWORD src1_sel:WORD_1
	v_fma_f16 v48, v49, v98, -v48
	v_mul_f16_sdwa v49, v49, v98 dst_sel:DWORD dst_unused:UNUSED_PAD src0_sel:DWORD src1_sel:WORD_1
	v_fma_f16 v47, v47, v98, v49
	v_pack_b32_f16 v47, v48, v47
	ds_write2_b32 v57, v46, v47 offset0:210 offset1:231
	s_waitcnt lgkmcnt(1)
	v_lshrrev_b32_e32 v46, 16, v50
	s_waitcnt vmcnt(0)
	v_mul_f16_sdwa v47, v46, v99 dst_sel:DWORD dst_unused:UNUSED_PAD src0_sel:DWORD src1_sel:WORD_1
	v_mul_f16_sdwa v48, v50, v99 dst_sel:DWORD dst_unused:UNUSED_PAD src0_sel:DWORD src1_sel:WORD_1
	v_fma_f16 v47, v50, v99, -v47
	v_fma_f16 v46, v46, v99, v48
	v_pack_b32_f16 v46, v47, v46
	ds_write_b32 v57, v46 offset:1008
	s_and_saveexec_b64 s[2:3], vcc
	s_cbranch_execz .LBB0_9
; %bb.8:
	v_mov_b32_e32 v46, s1
	v_add_co_u32_e64 v45, s[0:1], s0, v45
	v_addc_co_u32_e64 v46, s[0:1], 0, v46, s[0:1]
	global_load_dword v97, v[45:46], off offset:52
	global_load_dword v98, v[45:46], off offset:136
	;; [unrolled: 1-line block ×12, first 2 shown]
	ds_read2_b32 v[47:48], v57 offset0:13 offset1:34
	ds_read2_b32 v[49:50], v57 offset0:55 offset1:76
	;; [unrolled: 1-line block ×6, first 2 shown]
	global_load_dword v45, v[45:46], off offset:1060
	s_waitcnt lgkmcnt(5)
	v_lshrrev_b32_e32 v46, 16, v47
	v_lshrrev_b32_e32 v109, 16, v48
	s_waitcnt lgkmcnt(4)
	v_lshrrev_b32_e32 v110, 16, v49
	v_lshrrev_b32_e32 v111, 16, v50
	;; [unrolled: 3-line block ×5, first 2 shown]
	s_waitcnt vmcnt(12)
	v_mul_f16_sdwa v118, v46, v97 dst_sel:DWORD dst_unused:UNUSED_PAD src0_sel:DWORD src1_sel:WORD_1
	v_mul_f16_sdwa v119, v47, v97 dst_sel:DWORD dst_unused:UNUSED_PAD src0_sel:DWORD src1_sel:WORD_1
	s_waitcnt vmcnt(11)
	v_mul_f16_sdwa v120, v109, v98 dst_sel:DWORD dst_unused:UNUSED_PAD src0_sel:DWORD src1_sel:WORD_1
	v_mul_f16_sdwa v121, v48, v98 dst_sel:DWORD dst_unused:UNUSED_PAD src0_sel:DWORD src1_sel:WORD_1
	;; [unrolled: 3-line block ×8, first 2 shown]
	v_fma_f16 v47, v47, v97, -v118
	v_fma_f16 v46, v46, v97, v119
	v_fma_f16 v48, v48, v98, -v120
	v_fma_f16 v97, v109, v98, v121
	s_waitcnt vmcnt(4)
	v_mul_f16_sdwa v134, v116, v105 dst_sel:DWORD dst_unused:UNUSED_PAD src0_sel:DWORD src1_sel:WORD_1
	v_mul_f16_sdwa v135, v55, v105 dst_sel:DWORD dst_unused:UNUSED_PAD src0_sel:DWORD src1_sel:WORD_1
	s_waitcnt vmcnt(3)
	v_mul_f16_sdwa v136, v117, v106 dst_sel:DWORD dst_unused:UNUSED_PAD src0_sel:DWORD src1_sel:WORD_1
	v_mul_f16_sdwa v137, v56, v106 dst_sel:DWORD dst_unused:UNUSED_PAD src0_sel:DWORD src1_sel:WORD_1
	v_fma_f16 v49, v49, v99, -v122
	v_fma_f16 v98, v110, v99, v123
	v_fma_f16 v50, v50, v100, -v124
	v_fma_f16 v99, v111, v100, v125
	;; [unrolled: 2-line block ×6, first 2 shown]
	v_pack_b32_f16 v46, v47, v46
	v_pack_b32_f16 v47, v48, v97
	v_fma_f16 v55, v55, v105, -v134
	v_fma_f16 v104, v116, v105, v135
	v_fma_f16 v56, v56, v106, -v136
	v_pack_b32_f16 v48, v49, v98
	v_pack_b32_f16 v49, v50, v99
	;; [unrolled: 1-line block ×6, first 2 shown]
	ds_write2_b32 v57, v46, v47 offset0:13 offset1:34
	ds_write2_b32 v57, v48, v49 offset0:55 offset1:76
	;; [unrolled: 1-line block ×4, first 2 shown]
	v_fma_f16 v46, v117, v106, v137
	v_pack_b32_f16 v54, v55, v104
	v_pack_b32_f16 v46, v56, v46
	ds_write2_b32 v57, v54, v46 offset0:181 offset1:202
	s_waitcnt lgkmcnt(5)
	v_lshrrev_b32_e32 v46, 16, v95
	s_waitcnt vmcnt(2)
	v_mul_f16_sdwa v47, v46, v107 dst_sel:DWORD dst_unused:UNUSED_PAD src0_sel:DWORD src1_sel:WORD_1
	v_mul_f16_sdwa v48, v95, v107 dst_sel:DWORD dst_unused:UNUSED_PAD src0_sel:DWORD src1_sel:WORD_1
	v_fma_f16 v47, v95, v107, -v47
	v_fma_f16 v46, v46, v107, v48
	ds_read_b32 v49, v57 offset:1060
	v_pack_b32_f16 v46, v47, v46
	v_lshrrev_b32_e32 v47, 16, v96
	s_waitcnt vmcnt(1)
	v_mul_f16_sdwa v48, v47, v108 dst_sel:DWORD dst_unused:UNUSED_PAD src0_sel:DWORD src1_sel:WORD_1
	v_mul_f16_sdwa v50, v96, v108 dst_sel:DWORD dst_unused:UNUSED_PAD src0_sel:DWORD src1_sel:WORD_1
	v_fma_f16 v48, v96, v108, -v48
	v_fma_f16 v47, v47, v108, v50
	v_pack_b32_f16 v47, v48, v47
	ds_write2_b32 v57, v46, v47 offset0:223 offset1:244
	s_waitcnt lgkmcnt(1)
	v_lshrrev_b32_e32 v46, 16, v49
	s_waitcnt vmcnt(0)
	v_mul_f16_sdwa v47, v46, v45 dst_sel:DWORD dst_unused:UNUSED_PAD src0_sel:DWORD src1_sel:WORD_1
	v_mul_f16_sdwa v48, v49, v45 dst_sel:DWORD dst_unused:UNUSED_PAD src0_sel:DWORD src1_sel:WORD_1
	v_fma_f16 v47, v49, v45, -v47
	v_fma_f16 v45, v46, v45, v48
	v_pack_b32_f16 v45, v47, v45
	ds_write_b32 v57, v45 offset:1060
.LBB0_9:
	s_or_b64 exec, exec, s[2:3]
	s_waitcnt lgkmcnt(0)
	; wave barrier
	s_waitcnt lgkmcnt(0)
	ds_read2_b32 v[45:46], v57 offset1:21
	ds_read2_b32 v[53:54], v57 offset0:42 offset1:63
	ds_read2_b32 v[49:50], v57 offset0:84 offset1:105
	;; [unrolled: 1-line block ×5, first 2 shown]
	ds_read_b32 v95, v57 offset:1008
	s_and_saveexec_b64 s[0:1], vcc
	s_cbranch_execz .LBB0_11
; %bb.10:
	v_lshl_add_u32 v17, v58, 2, v72
	ds_read_b32 v86, v57 offset:52
	ds_read2_b32 v[39:40], v17 offset0:34 offset1:55
	ds_read2_b32 v[41:42], v17 offset0:76 offset1:97
	;; [unrolled: 1-line block ×5, first 2 shown]
	v_add_u32_e32 v17, 0x200, v17
	ds_read2_b32 v[17:18], v17 offset0:116 offset1:137
	s_waitcnt lgkmcnt(6)
	v_lshrrev_b32_e32 v87, 16, v86
	s_waitcnt lgkmcnt(5)
	v_lshrrev_b32_e32 v88, 16, v39
	v_lshrrev_b32_e32 v89, 16, v40
	s_waitcnt lgkmcnt(4)
	v_lshrrev_b32_e32 v90, 16, v41
	;; [unrolled: 3-line block ×6, first 2 shown]
	v_lshrrev_b32_e32 v79, 16, v18
.LBB0_11:
	s_or_b64 exec, exec, s[0:1]
	s_waitcnt lgkmcnt(6)
	v_pk_add_f16 v96, v45, v46
	s_waitcnt lgkmcnt(5)
	v_pk_add_f16 v96, v96, v53
	v_pk_add_f16 v96, v96, v54
	s_waitcnt lgkmcnt(4)
	v_pk_add_f16 v96, v96, v49
	v_pk_add_f16 v96, v96, v50
	s_waitcnt lgkmcnt(3)
	v_pk_add_f16 v96, v96, v47
	v_pk_add_f16 v96, v96, v48
	s_waitcnt lgkmcnt(2)
	v_pk_add_f16 v96, v96, v51
	v_pk_add_f16 v96, v96, v52
	s_waitcnt lgkmcnt(1)
	v_pk_add_f16 v96, v96, v55
	v_pk_add_f16 v96, v96, v56
	s_waitcnt lgkmcnt(0)
	v_pk_add_f16 v97, v95, v46
	v_pk_add_f16 v46, v46, v95 neg_lo:[0,1] neg_hi:[0,1]
	s_mov_b32 s4, 0xb770
	v_pk_add_f16 v96, v96, v95
	v_pk_mul_f16 v95, v46, s4 op_sel_hi:[1,0]
	s_movk_i32 s2, 0x3b15
	s_mov_b32 s5, 0xba95
	v_pk_add_f16 v116, v56, v53
	v_pk_add_f16 v53, v53, v56 neg_lo:[0,1] neg_hi:[0,1]
	v_pk_fma_f16 v98, v97, s2, v95 op_sel:[0,0,1] op_sel_hi:[1,0,0]
	v_pk_fma_f16 v95, v97, s2, v95 op_sel:[0,0,1] op_sel_hi:[1,0,0] neg_lo:[0,0,1] neg_hi:[0,0,1]
	s_mov_b32 s0, 0xffff
	s_movk_i32 s3, 0x388b
	v_pk_mul_f16 v56, v53, s5 op_sel_hi:[1,0]
	v_bfi_b32 v99, s0, v98, v95
	v_pk_fma_f16 v117, v116, s3, v56 op_sel:[0,0,1] op_sel_hi:[1,0,0]
	v_pk_fma_f16 v56, v116, s3, v56 op_sel:[0,0,1] op_sel_hi:[1,0,0] neg_lo:[0,0,1] neg_hi:[0,0,1]
	v_pk_add_f16 v99, v45, v99
	v_mul_f16_sdwa v100, v46, s5 dst_sel:DWORD dst_unused:UNUSED_PAD src0_sel:WORD_1 src1_sel:DWORD
	s_mov_b32 s15, 0xbb7b
	v_bfi_b32 v118, s0, v117, v56
	v_fma_f16 v101, v97, s3, v100
	s_mov_b32 s14, 0xb5ac
	v_pk_add_f16 v99, v118, v99
	v_mul_f16_sdwa v118, v53, s15 dst_sel:DWORD dst_unused:UNUSED_PAD src0_sel:WORD_1 src1_sel:DWORD
	v_add_f16_e32 v101, v45, v101
	v_mul_f16_sdwa v102, v97, s3 dst_sel:DWORD dst_unused:UNUSED_PAD src0_sel:WORD_1 src1_sel:DWORD
	v_fma_f16 v100, v97, s3, -v100
	v_fma_f16 v119, v116, s14, v118
	v_fma_f16 v103, v46, s22, v102
	v_add_f16_e32 v100, v45, v100
	v_fma_f16 v102, v46, s5, v102
	s_mov_b32 s13, 0xbbf1
	v_add_f16_e32 v101, v119, v101
	v_mul_f16_sdwa v119, v116, s14 dst_sel:DWORD dst_unused:UNUSED_PAD src0_sel:WORD_1 src1_sel:DWORD
	v_fma_f16 v118, v116, s14, -v118
	v_add_f16_sdwa v102, v45, v102 dst_sel:DWORD dst_unused:UNUSED_PAD src0_sel:WORD_1 src1_sel:DWORD
	v_mul_f16_sdwa v104, v46, s13 dst_sel:DWORD dst_unused:UNUSED_PAD src0_sel:WORD_1 src1_sel:DWORD
	s_movk_i32 s12, 0x2fb7
	v_add_f16_e32 v100, v118, v100
	v_fma_f16 v118, v53, s15, v119
	v_fma_f16 v105, v97, s12, v104
	s_movk_i32 s23, 0x3b7b
	v_add_f16_e32 v102, v118, v102
	v_mul_f16_sdwa v118, v53, s20 dst_sel:DWORD dst_unused:UNUSED_PAD src0_sel:WORD_1 src1_sel:DWORD
	v_add_f16_e32 v105, v45, v105
	v_mul_f16_sdwa v106, v97, s12 dst_sel:DWORD dst_unused:UNUSED_PAD src0_sel:WORD_1 src1_sel:DWORD
	s_movk_i32 s18, 0x3bf1
	v_fma_f16 v104, v97, s12, -v104
	v_fma_f16 v120, v53, s23, v119
	v_fma_f16 v119, v116, s19, v118
	;; [unrolled: 1-line block ×3, first 2 shown]
	v_add_f16_e32 v104, v45, v104
	v_fma_f16 v106, v46, s13, v106
	v_add_f16_e32 v105, v119, v105
	v_mul_f16_sdwa v119, v116, s19 dst_sel:DWORD dst_unused:UNUSED_PAD src0_sel:WORD_1 src1_sel:DWORD
	v_fma_f16 v118, v116, s19, -v118
	v_add_f16_sdwa v106, v45, v106 dst_sel:DWORD dst_unused:UNUSED_PAD src0_sel:WORD_1 src1_sel:DWORD
	v_mul_f16_sdwa v108, v46, s15 dst_sel:DWORD dst_unused:UNUSED_PAD src0_sel:WORD_1 src1_sel:DWORD
	s_movk_i32 s21, 0x394e
	v_add_f16_e32 v104, v118, v104
	v_fma_f16 v118, v53, s20, v119
	v_add_f16_sdwa v103, v45, v103 dst_sel:DWORD dst_unused:UNUSED_PAD src0_sel:WORD_1 src1_sel:DWORD
	v_fma_f16 v109, v97, s14, v108
	s_mov_b32 s16, 0xb9fd
	s_movk_i32 s24, 0x33a8
	v_add_f16_e32 v106, v118, v106
	v_mul_f16_sdwa v118, v53, s21 dst_sel:DWORD dst_unused:UNUSED_PAD src0_sel:WORD_1 src1_sel:DWORD
	v_add_f16_e32 v109, v45, v109
	v_mul_f16_sdwa v110, v97, s14 dst_sel:DWORD dst_unused:UNUSED_PAD src0_sel:WORD_1 src1_sel:DWORD
	v_fma_f16 v108, v97, s14, -v108
	v_add_f16_e32 v103, v120, v103
	v_fma_f16 v120, v53, s24, v119
	v_fma_f16 v119, v116, s16, v118
	;; [unrolled: 1-line block ×3, first 2 shown]
	v_add_f16_e32 v108, v45, v108
	v_fma_f16 v110, v46, s15, v110
	s_mov_b32 s17, 0xb94e
	v_add_f16_e32 v109, v119, v109
	v_mul_f16_sdwa v119, v116, s16 dst_sel:DWORD dst_unused:UNUSED_PAD src0_sel:WORD_1 src1_sel:DWORD
	v_fma_f16 v118, v116, s16, -v118
	v_add_f16_sdwa v110, v45, v110 dst_sel:DWORD dst_unused:UNUSED_PAD src0_sel:WORD_1 src1_sel:DWORD
	v_mul_f16_sdwa v112, v46, s17 dst_sel:DWORD dst_unused:UNUSED_PAD src0_sel:WORD_1 src1_sel:DWORD
	v_add_f16_e32 v108, v118, v108
	v_fma_f16 v118, v53, s21, v119
	v_add_f16_sdwa v107, v45, v107 dst_sel:DWORD dst_unused:UNUSED_PAD src0_sel:WORD_1 src1_sel:DWORD
	v_fma_f16 v113, v97, s16, v112
	v_add_f16_e32 v110, v118, v110
	v_mul_f16_sdwa v118, v53, s18 dst_sel:DWORD dst_unused:UNUSED_PAD src0_sel:WORD_1 src1_sel:DWORD
	v_add_f16_e32 v113, v45, v113
	v_mul_f16_sdwa v114, v97, s16 dst_sel:DWORD dst_unused:UNUSED_PAD src0_sel:WORD_1 src1_sel:DWORD
	v_fma_f16 v112, v97, s16, -v112
	v_add_f16_e32 v107, v120, v107
	v_fma_f16 v120, v53, s17, v119
	v_fma_f16 v119, v116, s12, v118
	;; [unrolled: 1-line block ×3, first 2 shown]
	v_add_f16_e32 v112, v45, v112
	v_fma_f16 v114, v46, s17, v114
	v_add_f16_e32 v113, v119, v113
	v_mul_f16_sdwa v119, v116, s12 dst_sel:DWORD dst_unused:UNUSED_PAD src0_sel:WORD_1 src1_sel:DWORD
	v_fma_f16 v118, v116, s12, -v118
	v_add_f16_sdwa v114, v45, v114 dst_sel:DWORD dst_unused:UNUSED_PAD src0_sel:WORD_1 src1_sel:DWORD
	v_add_f16_e32 v112, v118, v112
	v_fma_f16 v118, v53, s18, v119
	v_add_f16_e32 v114, v118, v114
	v_pk_add_f16 v118, v55, v54
	v_pk_add_f16 v54, v54, v55 neg_lo:[0,1] neg_hi:[0,1]
	v_add_f16_sdwa v111, v45, v111 dst_sel:DWORD dst_unused:UNUSED_PAD src0_sel:WORD_1 src1_sel:DWORD
	v_pk_mul_f16 v55, v54, s13 op_sel_hi:[1,0]
	v_add_f16_sdwa v115, v45, v115 dst_sel:DWORD dst_unused:UNUSED_PAD src0_sel:WORD_1 src1_sel:DWORD
	v_add_f16_e32 v111, v120, v111
	v_fma_f16 v120, v53, s13, v119
	v_pk_fma_f16 v119, v118, s12, v55 op_sel:[0,0,1] op_sel_hi:[1,0,0]
	v_pk_fma_f16 v55, v118, s12, v55 op_sel:[0,0,1] op_sel_hi:[1,0,0] neg_lo:[0,0,1] neg_hi:[0,0,1]
	v_add_f16_e32 v115, v120, v115
	v_bfi_b32 v120, s0, v119, v55
	v_pk_add_f16 v99, v120, v99
	v_mul_f16_sdwa v120, v54, s20 dst_sel:DWORD dst_unused:UNUSED_PAD src0_sel:WORD_1 src1_sel:DWORD
	v_fma_f16 v121, v118, s19, v120
	v_add_f16_e32 v101, v121, v101
	v_mul_f16_sdwa v121, v118, s19 dst_sel:DWORD dst_unused:UNUSED_PAD src0_sel:WORD_1 src1_sel:DWORD
	v_fma_f16 v120, v118, s19, -v120
	v_add_f16_e32 v100, v120, v100
	v_fma_f16 v120, v54, s20, v121
	v_add_f16_e32 v102, v120, v102
	v_mul_f16_sdwa v120, v54, s23 dst_sel:DWORD dst_unused:UNUSED_PAD src0_sel:WORD_1 src1_sel:DWORD
	v_fma_f16 v122, v54, s24, v121
	v_fma_f16 v121, v118, s14, v120
	v_add_f16_e32 v105, v121, v105
	v_mul_f16_sdwa v121, v118, s14 dst_sel:DWORD dst_unused:UNUSED_PAD src0_sel:WORD_1 src1_sel:DWORD
	v_fma_f16 v120, v118, s14, -v120
	v_add_f16_e32 v104, v120, v104
	v_fma_f16 v120, v54, s23, v121
	s_movk_i32 s25, 0x3770
	v_add_f16_e32 v106, v120, v106
	v_mul_f16_sdwa v120, v54, s25 dst_sel:DWORD dst_unused:UNUSED_PAD src0_sel:WORD_1 src1_sel:DWORD
	v_add_f16_e32 v103, v122, v103
	v_fma_f16 v122, v54, s15, v121
	v_fma_f16 v121, v118, s2, v120
	v_add_f16_e32 v109, v121, v109
	v_mul_f16_sdwa v121, v118, s2 dst_sel:DWORD dst_unused:UNUSED_PAD src0_sel:WORD_1 src1_sel:DWORD
	v_fma_f16 v120, v118, s2, -v120
	v_add_f16_e32 v108, v120, v108
	v_fma_f16 v120, v54, s25, v121
	v_add_f16_e32 v110, v120, v110
	v_mul_f16_sdwa v120, v54, s5 dst_sel:DWORD dst_unused:UNUSED_PAD src0_sel:WORD_1 src1_sel:DWORD
	v_add_f16_e32 v107, v122, v107
	v_fma_f16 v122, v54, s4, v121
	v_fma_f16 v121, v118, s3, v120
	v_add_f16_e32 v113, v121, v113
	v_mul_f16_sdwa v121, v118, s3 dst_sel:DWORD dst_unused:UNUSED_PAD src0_sel:WORD_1 src1_sel:DWORD
	v_fma_f16 v120, v118, s3, -v120
	v_add_f16_e32 v112, v120, v112
	v_fma_f16 v120, v54, s5, v121
	v_add_f16_e32 v114, v120, v114
	v_pk_add_f16 v120, v52, v49
	v_pk_add_f16 v49, v49, v52 neg_lo:[0,1] neg_hi:[0,1]
	v_pk_mul_f16 v52, v49, s15 op_sel_hi:[1,0]
	v_add_f16_e32 v111, v122, v111
	v_fma_f16 v122, v54, s22, v121
	v_pk_fma_f16 v121, v120, s14, v52 op_sel:[0,0,1] op_sel_hi:[1,0,0]
	v_pk_fma_f16 v52, v120, s14, v52 op_sel:[0,0,1] op_sel_hi:[1,0,0] neg_lo:[0,0,1] neg_hi:[0,0,1]
	v_add_f16_e32 v115, v122, v115
	v_bfi_b32 v122, s0, v121, v52
	v_pk_add_f16 v99, v122, v99
	v_mul_f16_sdwa v122, v49, s21 dst_sel:DWORD dst_unused:UNUSED_PAD src0_sel:WORD_1 src1_sel:DWORD
	v_fma_f16 v123, v120, s16, v122
	v_add_f16_e32 v101, v123, v101
	v_mul_f16_sdwa v123, v120, s16 dst_sel:DWORD dst_unused:UNUSED_PAD src0_sel:WORD_1 src1_sel:DWORD
	v_fma_f16 v122, v120, s16, -v122
	v_add_f16_e32 v100, v122, v100
	v_fma_f16 v122, v49, s21, v123
	v_add_f16_e32 v102, v122, v102
	v_mul_f16_sdwa v122, v49, s25 dst_sel:DWORD dst_unused:UNUSED_PAD src0_sel:WORD_1 src1_sel:DWORD
	v_fma_f16 v124, v49, s17, v123
	v_fma_f16 v123, v120, s2, v122
	v_add_f16_e32 v105, v123, v105
	v_mul_f16_sdwa v123, v120, s2 dst_sel:DWORD dst_unused:UNUSED_PAD src0_sel:WORD_1 src1_sel:DWORD
	v_fma_f16 v122, v120, s2, -v122
	v_add_f16_e32 v104, v122, v104
	v_fma_f16 v122, v49, s25, v123
	v_add_f16_e32 v106, v122, v106
	v_mul_f16_sdwa v122, v49, s13 dst_sel:DWORD dst_unused:UNUSED_PAD src0_sel:WORD_1 src1_sel:DWORD
	v_add_f16_e32 v103, v124, v103
	v_fma_f16 v124, v49, s4, v123
	v_fma_f16 v123, v120, s12, v122
	v_add_f16_e32 v109, v123, v109
	v_mul_f16_sdwa v123, v120, s12 dst_sel:DWORD dst_unused:UNUSED_PAD src0_sel:WORD_1 src1_sel:DWORD
	v_fma_f16 v122, v120, s12, -v122
	v_add_f16_e32 v108, v122, v108
	v_fma_f16 v122, v49, s13, v123
	v_add_f16_e32 v110, v122, v110
	v_mul_f16_sdwa v122, v49, s24 dst_sel:DWORD dst_unused:UNUSED_PAD src0_sel:WORD_1 src1_sel:DWORD
	v_add_f16_e32 v107, v124, v107
	v_fma_f16 v124, v49, s18, v123
	v_fma_f16 v123, v120, s19, v122
	v_add_f16_e32 v113, v123, v113
	v_mul_f16_sdwa v123, v120, s19 dst_sel:DWORD dst_unused:UNUSED_PAD src0_sel:WORD_1 src1_sel:DWORD
	v_fma_f16 v122, v120, s19, -v122
	v_add_f16_e32 v112, v122, v112
	v_fma_f16 v122, v49, s24, v123
	v_add_f16_e32 v114, v122, v114
	v_pk_add_f16 v122, v51, v50
	v_pk_add_f16 v50, v50, v51 neg_lo:[0,1] neg_hi:[0,1]
	v_pk_mul_f16 v51, v50, s17 op_sel_hi:[1,0]
	v_add_f16_e32 v111, v124, v111
	v_fma_f16 v124, v49, s20, v123
	v_pk_fma_f16 v123, v122, s16, v51 op_sel:[0,0,1] op_sel_hi:[1,0,0]
	v_pk_fma_f16 v51, v122, s16, v51 op_sel:[0,0,1] op_sel_hi:[1,0,0] neg_lo:[0,0,1] neg_hi:[0,0,1]
	v_add_f16_e32 v115, v124, v115
	v_bfi_b32 v124, s0, v123, v51
	v_pk_add_f16 v99, v124, v99
	v_mul_f16_sdwa v124, v50, s18 dst_sel:DWORD dst_unused:UNUSED_PAD src0_sel:WORD_1 src1_sel:DWORD
	v_fma_f16 v125, v122, s12, v124
	v_add_f16_e32 v101, v125, v101
	v_mul_f16_sdwa v125, v122, s12 dst_sel:DWORD dst_unused:UNUSED_PAD src0_sel:WORD_1 src1_sel:DWORD
	v_fma_f16 v124, v122, s12, -v124
	v_add_f16_e32 v100, v124, v100
	v_fma_f16 v124, v50, s18, v125
	v_add_f16_e32 v102, v124, v102
	v_mul_f16_sdwa v124, v50, s5 dst_sel:DWORD dst_unused:UNUSED_PAD src0_sel:WORD_1 src1_sel:DWORD
	v_fma_f16 v126, v50, s13, v125
	v_fma_f16 v125, v122, s3, v124
	v_add_f16_e32 v105, v125, v105
	v_mul_f16_sdwa v125, v122, s3 dst_sel:DWORD dst_unused:UNUSED_PAD src0_sel:WORD_1 src1_sel:DWORD
	v_fma_f16 v124, v122, s3, -v124
	v_add_f16_e32 v104, v124, v104
	v_fma_f16 v124, v50, s5, v125
	v_add_f16_e32 v106, v124, v106
	v_mul_f16_sdwa v124, v50, s24 dst_sel:DWORD dst_unused:UNUSED_PAD src0_sel:WORD_1 src1_sel:DWORD
	v_add_f16_e32 v103, v126, v103
	v_fma_f16 v126, v50, s22, v125
	v_fma_f16 v125, v122, s19, v124
	v_add_f16_e32 v109, v125, v109
	v_mul_f16_sdwa v125, v122, s19 dst_sel:DWORD dst_unused:UNUSED_PAD src0_sel:WORD_1 src1_sel:DWORD
	v_fma_f16 v124, v122, s19, -v124
	v_add_f16_e32 v108, v124, v108
	v_fma_f16 v124, v50, s24, v125
	v_add_f16_e32 v110, v124, v110
	v_mul_f16_sdwa v124, v50, s25 dst_sel:DWORD dst_unused:UNUSED_PAD src0_sel:WORD_1 src1_sel:DWORD
	v_add_f16_e32 v107, v126, v107
	v_fma_f16 v126, v50, s20, v125
	v_fma_f16 v125, v122, s2, v124
	v_add_f16_e32 v113, v125, v113
	v_mul_f16_sdwa v125, v122, s2 dst_sel:DWORD dst_unused:UNUSED_PAD src0_sel:WORD_1 src1_sel:DWORD
	v_fma_f16 v124, v122, s2, -v124
	v_add_f16_e32 v112, v124, v112
	v_fma_f16 v124, v50, s25, v125
	v_add_f16_e32 v114, v124, v114
	v_pk_add_f16 v124, v48, v47
	v_pk_add_f16 v47, v47, v48 neg_lo:[0,1] neg_hi:[0,1]
	v_pk_mul_f16 v48, v47, s20 op_sel_hi:[1,0]
	v_add_f16_e32 v111, v126, v111
	v_fma_f16 v126, v50, s4, v125
	v_pk_fma_f16 v125, v124, s19, v48 op_sel:[0,0,1] op_sel_hi:[1,0,0]
	v_pk_fma_f16 v48, v124, s19, v48 op_sel:[0,0,1] op_sel_hi:[1,0,0] neg_lo:[0,0,1] neg_hi:[0,0,1]
	v_add_f16_e32 v115, v126, v115
	v_bfi_b32 v126, s0, v125, v48
	v_pk_add_f16 v99, v126, v99
	v_mul_f16_sdwa v126, v47, s25 dst_sel:DWORD dst_unused:UNUSED_PAD src0_sel:WORD_1 src1_sel:DWORD
	v_fma_f16 v127, v124, s2, v126
	v_add_f16_e32 v101, v127, v101
	v_mul_f16_sdwa v127, v124, s2 dst_sel:DWORD dst_unused:UNUSED_PAD src0_sel:WORD_1 src1_sel:DWORD
	v_fma_f16 v126, v124, s2, -v126
	v_add_f16_e32 v100, v126, v100
	v_fma_f16 v126, v47, s25, v127
	v_add_f16_e32 v102, v126, v102
	v_mul_f16_sdwa v126, v47, s17 dst_sel:DWORD dst_unused:UNUSED_PAD src0_sel:WORD_1 src1_sel:DWORD
	v_fma_f16 v128, v47, s4, v127
	v_fma_f16 v127, v124, s16, v126
	v_add_f16_e32 v105, v127, v105
	v_mul_f16_sdwa v127, v124, s16 dst_sel:DWORD dst_unused:UNUSED_PAD src0_sel:WORD_1 src1_sel:DWORD
	v_fma_f16 v126, v124, s16, -v126
	v_add_f16_e32 v104, v126, v104
	v_fma_f16 v126, v47, s17, v127
	v_add_f16_e32 v106, v126, v106
	v_mul_f16_sdwa v126, v47, s22 dst_sel:DWORD dst_unused:UNUSED_PAD src0_sel:WORD_1 src1_sel:DWORD
	v_add_f16_e32 v103, v128, v103
	v_fma_f16 v128, v47, s21, v127
	v_fma_f16 v127, v124, s3, v126
	v_add_f16_e32 v109, v127, v109
	v_mul_f16_sdwa v127, v124, s3 dst_sel:DWORD dst_unused:UNUSED_PAD src0_sel:WORD_1 src1_sel:DWORD
	v_fma_f16 v126, v124, s3, -v126
	v_add_f16_e32 v108, v126, v108
	v_fma_f16 v126, v47, s22, v127
	v_add_f16_e32 v110, v126, v110
	v_mul_f16_sdwa v126, v47, s15 dst_sel:DWORD dst_unused:UNUSED_PAD src0_sel:WORD_1 src1_sel:DWORD
	v_add_f16_e32 v107, v128, v107
	v_fma_f16 v128, v47, s5, v127
	v_fma_f16 v127, v124, s14, v126
	v_add_f16_e32 v113, v127, v113
	v_mul_f16_sdwa v127, v124, s14 dst_sel:DWORD dst_unused:UNUSED_PAD src0_sel:WORD_1 src1_sel:DWORD
	v_add_f16_e32 v111, v128, v111
	v_fma_f16 v128, v47, s23, v127
	s_waitcnt lgkmcnt(0)
	; wave barrier
	v_add_f16_e32 v115, v128, v115
	ds_write2_b32 v73, v96, v99 offset1:1
	v_pack_b32_f16 v96, v105, v107
	v_pack_b32_f16 v99, v101, v103
	ds_write2_b32 v73, v99, v96 offset0:2 offset1:3
	v_pack_b32_f16 v96, v113, v115
	v_pack_b32_f16 v99, v109, v111
	ds_write2_b32 v73, v99, v96 offset0:4 offset1:5
	v_pk_mul_f16 v96, v97, s19 op_sel_hi:[1,0]
	v_pk_fma_f16 v97, v46, s20, v96 op_sel:[0,0,1] op_sel_hi:[1,0,0]
	v_pk_fma_f16 v46, v46, s20, v96 op_sel:[0,0,1] op_sel_hi:[1,0,0] neg_lo:[1,0,0] neg_hi:[1,0,0]
	v_alignbit_b32 v96, s0, v45, 16
	v_alignbit_b32 v99, s0, v97, 16
	v_pk_add_f16 v96, v96, v97
	v_pk_mul_f16 v97, v116, s2 op_sel_hi:[1,0]
	v_pk_add_f16 v46, v45, v46 op_sel:[1,0] op_sel_hi:[0,1]
	v_pk_fma_f16 v101, v53, s25, v97 op_sel:[0,0,1] op_sel_hi:[1,0,0]
	v_pk_fma_f16 v53, v53, s25, v97 op_sel:[0,0,1] op_sel_hi:[1,0,0] neg_lo:[1,0,0] neg_hi:[1,0,0]
	v_pk_add_f16 v46, v53, v46
	v_pk_add_f16 v53, v101, v96
	v_pk_mul_f16 v96, v118, s16 op_sel_hi:[1,0]
	v_pk_fma_f16 v97, v54, s17, v96 op_sel:[0,0,1] op_sel_hi:[1,0,0]
	v_pk_fma_f16 v54, v54, s17, v96 op_sel:[0,0,1] op_sel_hi:[1,0,0] neg_lo:[1,0,0] neg_hi:[1,0,0]
	v_pk_add_f16 v46, v54, v46
	v_pk_mul_f16 v54, v120, s3 op_sel_hi:[1,0]
	v_pk_add_f16 v53, v97, v53
	v_pk_fma_f16 v96, v49, s22, v54 op_sel:[0,0,1] op_sel_hi:[1,0,0]
	v_pk_fma_f16 v49, v49, s22, v54 op_sel:[0,0,1] op_sel_hi:[1,0,0] neg_lo:[1,0,0] neg_hi:[1,0,0]
	v_pk_add_f16 v99, v45, v99
	v_alignbit_b32 v103, s0, v101, 16
	v_pk_add_f16 v46, v49, v46
	v_pk_add_f16 v49, v96, v53
	v_pk_mul_f16 v53, v122, s14 op_sel_hi:[1,0]
	v_pk_add_f16 v99, v103, v99
	v_alignbit_b32 v101, s0, v97, 16
	v_pk_fma_f16 v54, v50, s15, v53 op_sel:[0,0,1] op_sel_hi:[1,0,0]
	v_pk_fma_f16 v50, v50, s15, v53 op_sel:[0,0,1] op_sel_hi:[1,0,0] neg_lo:[1,0,0] neg_hi:[1,0,0]
	v_pk_add_f16 v99, v101, v99
	v_alignbit_b32 v97, s0, v96, 16
	v_pk_add_f16 v46, v50, v46
	v_pk_mul_f16 v50, v124, s12 op_sel_hi:[1,0]
	v_fma_f16 v126, v124, s14, -v126
	v_pk_add_f16 v97, v97, v99
	v_alignbit_b32 v96, s0, v54, 16
	v_pk_fma_f16 v53, v47, s18, v50 op_sel:[0,0,1] op_sel_hi:[1,0,0]
	v_add_f16_e32 v112, v126, v112
	v_fma_f16 v126, v47, s15, v127
	v_pk_add_f16 v96, v96, v97
	v_pk_add_f16 v49, v54, v49
	v_alignbit_b32 v54, s0, v53, 16
	v_pk_fma_f16 v47, v47, s18, v50 op_sel:[0,0,1] op_sel_hi:[1,0,0] neg_lo:[1,0,0] neg_hi:[1,0,0]
	v_pk_add_f16 v54, v54, v96
	v_pk_add_f16 v46, v47, v46
	;; [unrolled: 1-line block ×3, first 2 shown]
	v_add_f16_e32 v114, v126, v114
	v_alignbit_b32 v47, v47, v46, 16
	v_pack_b32_f16 v46, v54, v46
	ds_write2_b32 v73, v46, v47 offset0:6 offset1:7
	v_pack_b32_f16 v46, v108, v110
	v_pack_b32_f16 v47, v112, v114
	ds_write2_b32 v73, v47, v46 offset0:8 offset1:9
	v_pack_b32_f16 v46, v100, v102
	v_pack_b32_f16 v47, v104, v106
	ds_write2_b32 v73, v47, v46 offset0:10 offset1:11
	v_bfi_b32 v46, s0, v95, v98
	v_pk_add_f16 v45, v45, v46
	v_bfi_b32 v46, s0, v56, v117
	v_pk_add_f16 v45, v46, v45
	v_bfi_b32 v46, s0, v55, v119
	v_pk_add_f16 v45, v46, v45
	v_bfi_b32 v46, s0, v52, v121
	v_pk_add_f16 v45, v46, v45
	v_bfi_b32 v46, s0, v51, v123
	v_pk_add_f16 v45, v46, v45
	v_bfi_b32 v46, s0, v48, v125
	v_add_u32_e32 v85, 0x68, v85
	v_pk_add_f16 v45, v46, v45
	ds_write_b32 v73, v45 offset:48
	s_and_saveexec_b64 s[0:1], vcc
	s_cbranch_execz .LBB0_13
; %bb.12:
	v_add_f16_e32 v45, v79, v88
	v_mul_f16_e32 v46, 0xbbc4, v45
	v_sub_f16_e32 v47, v39, v18
	v_add_f16_e32 v49, v75, v89
	v_fma_f16 v48, v47, s24, v46
	v_mul_f16_e32 v50, 0x3b15, v49
	v_sub_f16_e32 v51, v40, v17
	v_add_f16_e32 v48, v87, v48
	v_fma_f16 v52, v51, s4, v50
	v_add_f16_e32 v48, v52, v48
	v_add_f16_e32 v52, v76, v90
	v_mul_f16_e32 v53, 0xb9fd, v52
	v_sub_f16_e32 v54, v41, v16
	v_fma_f16 v55, v54, s21, v53
	v_add_f16_e32 v48, v55, v48
	v_add_f16_e32 v55, v77, v91
	v_mul_f16_e32 v56, 0x388b, v55
	v_sub_f16_e32 v73, v42, v15
	;; [unrolled: 5-line block ×4, first 2 shown]
	v_fma_f16 v101, v100, s13, v99
	v_sub_f16_e32 v102, v88, v79
	v_add_f16_e32 v48, v101, v48
	v_add_f16_e32 v101, v18, v39
	v_mul_f16_e32 v103, 0xb3a8, v102
	v_sub_f16_e32 v106, v89, v75
	v_fma_f16 v104, v101, s19, v103
	v_add_f16_e32 v105, v17, v40
	v_mul_f16_e32 v107, 0x3770, v106
	v_add_f16_e32 v104, v86, v104
	v_fma_f16 v108, v105, s2, v107
	v_sub_f16_e32 v109, v90, v76
	v_add_f16_e32 v104, v108, v104
	v_add_f16_e32 v108, v16, v41
	v_mul_f16_e32 v110, 0xb94e, v109
	v_fma_f16 v111, v108, s16, v110
	v_sub_f16_e32 v112, v91, v77
	v_add_f16_e32 v104, v111, v104
	v_add_f16_e32 v111, v15, v42
	v_mul_f16_e32 v113, 0x3a95, v112
	v_fma_f16 v114, v111, s3, v113
	v_sub_f16_e32 v115, v92, v78
	v_add_f16_e32 v104, v114, v104
	v_add_f16_e32 v114, v22, v43
	v_mul_f16_e32 v116, 0xbb7b, v115
	v_fma_f16 v117, v114, s14, v116
	v_sub_f16_e32 v118, v93, v94
	v_add_f16_e32 v104, v117, v104
	v_add_f16_e32 v117, v21, v44
	v_mul_f16_e32 v119, 0x3bf1, v118
	v_fma_f16 v120, v117, s12, v119
	v_add_f16_e32 v104, v120, v104
	v_mul_f16_e32 v120, 0xb9fd, v45
	v_fma_f16 v121, v47, s21, v120
	v_mul_f16_e32 v122, 0x2fb7, v49
	v_add_f16_e32 v121, v87, v121
	v_fma_f16 v123, v51, s13, v122
	v_add_f16_e32 v121, v123, v121
	v_mul_f16_e32 v123, 0x388b, v52
	v_fma_f16 v124, v54, s22, v123
	v_add_f16_e32 v121, v124, v121
	v_mul_f16_e32 v124, 0xbbc4, v55
	;; [unrolled: 3-line block ×5, first 2 shown]
	v_fma_f16 v128, v101, s16, v127
	v_mul_f16_e32 v129, 0x3bf1, v106
	v_add_f16_e32 v128, v86, v128
	v_fma_f16 v130, v105, s12, v129
	v_add_f16_e32 v128, v130, v128
	v_mul_f16_e32 v130, 0xba95, v109
	v_fma_f16 v131, v108, s3, v130
	v_add_f16_e32 v128, v131, v128
	v_mul_f16_e32 v131, 0x33a8, v112
	;; [unrolled: 3-line block ×4, first 2 shown]
	v_add_f16_e32 v39, v39, v86
	v_fma_f16 v134, v117, s14, v133
	v_add_f16_e32 v39, v40, v39
	v_add_f16_e32 v128, v134, v128
	v_mul_f16_e32 v134, 0xb5ac, v45
	v_add_f16_e32 v39, v41, v39
	v_fma_f16 v135, v47, s23, v134
	v_mul_f16_e32 v136, 0xb9fd, v49
	v_add_f16_e32 v39, v42, v39
	v_add_f16_e32 v135, v87, v135
	v_fma_f16 v137, v51, s17, v136
	v_add_f16_e32 v39, v43, v39
	v_add_f16_e32 v135, v137, v135
	v_mul_f16_e32 v137, 0x3b15, v52
	v_add_f16_e32 v39, v44, v39
	v_fma_f16 v138, v54, s4, v137
	v_add_f16_e32 v21, v21, v39
	v_add_f16_e32 v135, v138, v135
	v_mul_f16_e32 v138, 0x2fb7, v55
	;; [unrolled: 5-line block ×3, first 2 shown]
	v_add_f16_e32 v15, v16, v15
	v_fma_f16 v140, v97, s20, v139
	v_add_f16_e32 v15, v17, v15
	v_fma_f16 v17, v47, s20, v46
	v_add_f16_e32 v135, v140, v135
	v_mul_f16_e32 v140, 0x388b, v98
	v_add_f16_e32 v15, v18, v15
	v_add_f16_e32 v17, v87, v17
	v_fma_f16 v18, v51, s25, v50
	v_fma_f16 v141, v100, s5, v140
	v_add_f16_e32 v17, v18, v17
	v_fma_f16 v18, v54, s17, v53
	v_add_f16_e32 v135, v141, v135
	v_mul_f16_e32 v141, 0xbb7b, v102
	v_add_f16_e32 v17, v18, v17
	v_fma_f16 v18, v73, s22, v56
	v_fma_f16 v142, v101, s14, v141
	v_mul_f16_e32 v143, 0x394e, v106
	v_add_f16_e32 v17, v18, v17
	v_fma_f16 v18, v97, s15, v96
	v_add_f16_e32 v142, v86, v142
	v_fma_f16 v144, v105, s16, v143
	;; [unrolled: 2-line block ×3, first 2 shown]
	v_add_f16_e32 v142, v144, v142
	v_mul_f16_e32 v144, 0x3770, v109
	v_add_f16_e32 v17, v18, v17
	v_fma_f16 v18, v101, s19, -v103
	v_fma_f16 v145, v108, s2, v144
	v_add_f16_e32 v18, v86, v18
	v_fma_f16 v21, v105, s2, -v107
	v_add_f16_e32 v142, v145, v142
	v_mul_f16_e32 v145, 0xbbf1, v112
	v_add_f16_e32 v18, v21, v18
	v_fma_f16 v21, v108, s16, -v110
	v_fma_f16 v146, v111, s12, v145
	v_add_f16_e32 v18, v21, v18
	v_fma_f16 v21, v111, s3, -v113
	;; [unrolled: 7-line block ×3, first 2 shown]
	v_add_f16_e32 v142, v147, v142
	v_mul_f16_e32 v147, 0x3a95, v118
	v_add_f16_e32 v18, v21, v18
	v_fma_f16 v21, v47, s17, v120
	v_fma_f16 v148, v117, s3, v147
	v_add_f16_e32 v21, v87, v21
	v_fma_f16 v22, v51, s18, v122
	v_add_f16_e32 v142, v148, v142
	v_mul_f16_e32 v148, 0x2fb7, v45
	v_add_f16_e32 v21, v22, v21
	v_fma_f16 v22, v54, s5, v123
	v_fma_f16 v149, v47, s18, v148
	v_mul_f16_e32 v150, 0xbbc4, v49
	v_add_f16_e32 v21, v22, v21
	v_fma_f16 v22, v73, s24, v124
	v_add_f16_e32 v149, v87, v149
	v_fma_f16 v151, v51, s24, v150
	v_add_f16_e32 v21, v22, v21
	v_fma_f16 v22, v97, s25, v125
	v_add_f16_e32 v149, v151, v149
	v_mul_f16_e32 v151, 0xb5ac, v52
	v_add_f16_e32 v21, v22, v21
	v_fma_f16 v22, v100, s15, v126
	v_fma_f16 v152, v54, s15, v151
	v_add_f16_e32 v21, v22, v21
	v_fma_f16 v22, v101, s16, -v127
	v_add_f16_e32 v149, v152, v149
	v_mul_f16_e32 v152, 0x3b15, v55
	v_add_f16_e32 v22, v86, v22
	v_fma_f16 v39, v105, s12, -v129
	v_fma_f16 v153, v73, s4, v152
	v_add_f16_e32 v22, v39, v22
	v_fma_f16 v39, v108, s3, -v130
	v_add_f16_e32 v149, v153, v149
	v_mul_f16_e32 v153, 0x388b, v95
	v_add_f16_e32 v22, v39, v22
	v_fma_f16 v39, v111, s19, -v131
	;; [unrolled: 7-line block ×3, first 2 shown]
	v_fma_f16 v155, v100, s21, v154
	v_add_f16_e32 v22, v39, v22
	v_fma_f16 v39, v47, s15, v134
	v_add_f16_e32 v149, v155, v149
	v_mul_f16_e32 v155, 0xbbf1, v102
	v_add_f16_e32 v39, v87, v39
	v_fma_f16 v40, v51, s21, v136
	v_fma_f16 v156, v101, s12, v155
	v_mul_f16_e32 v157, 0xb3a8, v106
	v_add_f16_e32 v39, v40, v39
	v_fma_f16 v40, v54, s25, v137
	v_add_f16_e32 v156, v86, v156
	v_fma_f16 v158, v105, s19, v157
	;; [unrolled: 2-line block ×3, first 2 shown]
	v_add_f16_e32 v156, v158, v156
	v_mul_f16_e32 v158, 0x3b7b, v109
	v_add_f16_e32 v39, v40, v39
	v_fma_f16 v40, v97, s24, v139
	v_fma_f16 v159, v108, s14, v158
	v_add_f16_e32 v39, v40, v39
	v_fma_f16 v40, v100, s22, v140
	v_add_f16_e32 v156, v159, v156
	v_mul_f16_e32 v159, 0x3770, v112
	v_add_f16_e32 v39, v40, v39
	v_fma_f16 v40, v101, s14, -v141
	v_fma_f16 v160, v111, s2, v159
	v_add_f16_e32 v40, v86, v40
	v_fma_f16 v41, v105, s16, -v143
	v_add_f16_e32 v156, v160, v156
	v_mul_f16_e32 v160, 0xba95, v115
	v_add_f16_e32 v40, v41, v40
	v_fma_f16 v41, v108, s2, -v144
	v_fma_f16 v161, v114, s3, v160
	v_add_f16_e32 v40, v41, v40
	v_fma_f16 v41, v111, s12, -v145
	;; [unrolled: 7-line block ×3, first 2 shown]
	v_add_f16_e32 v156, v162, v156
	v_mul_f16_e32 v162, 0x388b, v45
	v_add_f16_e32 v40, v41, v40
	v_fma_f16 v41, v47, s13, v148
	v_fma_f16 v163, v47, s22, v162
	v_mul_f16_e32 v164, 0xb5ac, v49
	v_add_f16_e32 v41, v87, v41
	v_fma_f16 v42, v51, s20, v150
	v_add_f16_e32 v163, v87, v163
	v_fma_f16 v165, v51, s23, v164
	;; [unrolled: 2-line block ×3, first 2 shown]
	v_add_f16_e32 v163, v165, v163
	v_mul_f16_e32 v165, 0xbbc4, v52
	v_add_f16_e32 v41, v42, v41
	v_fma_f16 v42, v73, s25, v152
	v_fma_f16 v166, v54, s24, v165
	v_add_f16_e32 v41, v42, v41
	v_fma_f16 v42, v97, s5, v153
	v_add_f16_e32 v163, v166, v163
	v_mul_f16_e32 v166, 0xb9fd, v55
	v_add_f16_e32 v41, v42, v41
	v_fma_f16 v42, v100, s17, v154
	v_fma_f16 v167, v73, s17, v166
	v_add_f16_e32 v41, v42, v41
	v_fma_f16 v42, v101, s12, -v155
	v_add_f16_e32 v163, v167, v163
	v_mul_f16_e32 v167, 0x2fb7, v95
	v_add_f16_e32 v42, v86, v42
	v_fma_f16 v43, v105, s19, -v157
	v_fma_f16 v168, v97, s13, v167
	v_add_f16_e32 v42, v43, v42
	v_fma_f16 v43, v108, s14, -v158
	v_add_f16_e32 v163, v168, v163
	v_mul_f16_e32 v168, 0x3b15, v98
	v_add_f16_e32 v42, v43, v42
	v_fma_f16 v43, v111, s2, -v159
	;; [unrolled: 7-line block ×3, first 2 shown]
	v_fma_f16 v170, v101, s3, v169
	v_mul_f16_e32 v171, 0xbb7b, v106
	v_add_f16_e32 v42, v43, v42
	v_fma_f16 v43, v47, s5, v162
	v_add_f16_e32 v170, v86, v170
	v_fma_f16 v172, v105, s14, v171
	;; [unrolled: 2-line block ×3, first 2 shown]
	v_add_f16_e32 v170, v172, v170
	v_mul_f16_e32 v172, 0xb3a8, v109
	v_add_f16_e32 v43, v44, v43
	v_fma_f16 v44, v54, s20, v165
	v_fma_f16 v173, v108, s19, v172
	v_add_f16_e32 v43, v44, v43
	v_fma_f16 v44, v73, s21, v166
	v_add_f16_e32 v170, v173, v170
	v_mul_f16_e32 v173, 0x394e, v112
	v_add_f16_e32 v43, v44, v43
	v_fma_f16 v44, v97, s18, v167
	v_fma_f16 v174, v111, s16, v173
	v_add_f16_e32 v43, v44, v43
	v_fma_f16 v44, v100, s25, v168
	v_add_f16_e32 v170, v174, v170
	v_mul_f16_e32 v174, 0x3bf1, v115
	v_add_f16_e32 v43, v44, v43
	v_fma_f16 v44, v101, s3, -v169
	v_fma_f16 v175, v114, s12, v174
	v_add_f16_e32 v44, v86, v44
	v_fma_f16 v46, v105, s14, -v171
	v_add_f16_e32 v170, v175, v170
	v_mul_f16_e32 v175, 0x3770, v118
	v_add_f16_e32 v44, v46, v44
	v_fma_f16 v46, v108, s19, -v172
	v_fma_f16 v176, v117, s2, v175
	v_mul_f16_e32 v45, 0x3b15, v45
	v_add_f16_e32 v44, v46, v44
	v_fma_f16 v46, v111, s16, -v173
	v_add_f16_e32 v170, v176, v170
	v_fma_f16 v176, v47, s25, v45
	v_mul_f16_e32 v49, 0x388b, v49
	v_add_f16_e32 v44, v46, v44
	v_fma_f16 v46, v114, s12, -v174
	v_add_f16_e32 v176, v87, v176
	v_fma_f16 v177, v51, s22, v49
	v_mul_f16_e32 v52, 0x2fb7, v52
	v_add_f16_e32 v16, v88, v87
	v_add_f16_e32 v44, v46, v44
	v_fma_f16 v46, v117, s2, -v175
	v_fma_f16 v45, v47, s4, v45
	v_add_f16_e32 v176, v177, v176
	v_fma_f16 v177, v54, s18, v52
	v_mul_f16_e32 v55, 0xb5ac, v55
	v_add_f16_e32 v16, v89, v16
	v_add_f16_e32 v44, v46, v44
	;; [unrolled: 1-line block ×3, first 2 shown]
	v_fma_f16 v46, v51, s5, v49
	v_add_f16_e32 v176, v177, v176
	v_fma_f16 v177, v73, s23, v55
	v_mul_f16_e32 v95, 0xb9fd, v95
	v_add_f16_e32 v16, v90, v16
	v_add_f16_e32 v45, v46, v45
	v_fma_f16 v46, v54, s13, v52
	v_add_f16_e32 v176, v177, v176
	v_fma_f16 v177, v97, s21, v95
	v_mul_f16_e32 v98, 0xbbc4, v98
	v_add_f16_e32 v16, v91, v16
	v_add_f16_e32 v45, v46, v45
	;; [unrolled: 6-line block ×5, first 2 shown]
	v_fma_f16 v46, v101, s2, -v102
	v_add_f16_e32 v177, v178, v177
	v_fma_f16 v178, v108, s12, v109
	v_mul_f16_e32 v112, 0xbb7b, v112
	v_add_f16_e32 v16, v78, v16
	v_add_f16_e32 v46, v86, v46
	v_fma_f16 v47, v105, s3, -v106
	v_add_f16_e32 v177, v178, v177
	v_fma_f16 v178, v111, s14, v112
	v_mul_f16_e32 v115, 0xb94e, v115
	v_add_f16_e32 v16, v77, v16
	v_add_f16_e32 v46, v47, v46
	;; [unrolled: 6-line block ×3, first 2 shown]
	v_fma_f16 v47, v111, s14, -v112
	v_add_f16_e32 v177, v178, v177
	v_fma_f16 v178, v117, s19, v118
	v_add_f16_e32 v16, v75, v16
	v_add_f16_e32 v46, v47, v46
	v_fma_f16 v47, v114, s16, -v115
	v_add_f16_e32 v177, v178, v177
	v_add_f16_e32 v16, v79, v16
	;; [unrolled: 1-line block ×3, first 2 shown]
	v_fma_f16 v47, v117, s19, -v118
	v_add_f16_e32 v46, v47, v46
	v_lshl_add_u32 v47, v74, 2, v72
	v_pack_b32_f16 v49, v177, v176
	v_pack_b32_f16 v15, v15, v16
	ds_write2_b32 v47, v15, v49 offset1:1
	v_pack_b32_f16 v15, v156, v149
	v_pack_b32_f16 v16, v170, v163
	ds_write2_b32 v47, v16, v15 offset0:2 offset1:3
	v_pack_b32_f16 v15, v128, v121
	v_pack_b32_f16 v16, v142, v135
	ds_write2_b32 v47, v16, v15 offset0:4 offset1:5
	;; [unrolled: 3-line block ×5, first 2 shown]
	v_pack_b32_f16 v15, v46, v45
	ds_write_b32 v47, v15 offset:48
.LBB0_13:
	s_or_b64 exec, exec, s[0:1]
	s_waitcnt lgkmcnt(0)
	; wave barrier
	s_waitcnt lgkmcnt(0)
	ds_read2_b32 v[15:16], v57 offset1:13
	ds_read2_b32 v[17:18], v57 offset0:78 offset1:91
	ds_read2_b32 v[21:22], v57 offset0:182 offset1:195
	;; [unrolled: 1-line block ×5, first 2 shown]
	s_waitcnt lgkmcnt(4)
	v_lshrrev_b32_e32 v54, 16, v18
	v_mul_f16_sdwa v96, v19, v54 dst_sel:DWORD dst_unused:UNUSED_PAD src0_sel:WORD_1 src1_sel:DWORD
	s_waitcnt lgkmcnt(3)
	v_lshrrev_b32_e32 v55, 16, v21
	v_fma_f16 v96, v19, v18, v96
	v_mul_f16_sdwa v18, v19, v18 dst_sel:DWORD dst_unused:UNUSED_PAD src0_sel:WORD_1 src1_sel:DWORD
	v_fma_f16 v18, v19, v54, -v18
	v_mul_f16_sdwa v54, v20, v55 dst_sel:DWORD dst_unused:UNUSED_PAD src0_sel:WORD_1 src1_sel:DWORD
	s_waitcnt lgkmcnt(2)
	v_lshrrev_b32_e32 v72, 16, v39
	v_fma_f16 v54, v20, v21, v54
	v_mul_f16_sdwa v21, v20, v21 dst_sel:DWORD dst_unused:UNUSED_PAD src0_sel:WORD_1 src1_sel:DWORD
	v_fma_f16 v21, v20, v55, -v21
	v_mul_f16_sdwa v55, v19, v72 dst_sel:DWORD dst_unused:UNUSED_PAD src0_sel:WORD_1 src1_sel:DWORD
	v_lshrrev_b32_e32 v73, 16, v22
	v_fma_f16 v55, v19, v39, v55
	v_mul_f16_sdwa v39, v19, v39 dst_sel:DWORD dst_unused:UNUSED_PAD src0_sel:WORD_1 src1_sel:DWORD
	v_fma_f16 v19, v19, v72, -v39
	v_mul_f16_sdwa v39, v20, v73 dst_sel:DWORD dst_unused:UNUSED_PAD src0_sel:WORD_1 src1_sel:DWORD
	v_lshrrev_b32_e32 v75, 16, v40
	v_fma_f16 v39, v20, v22, v39
	v_mul_f16_sdwa v22, v20, v22 dst_sel:DWORD dst_unused:UNUSED_PAD src0_sel:WORD_1 src1_sel:DWORD
	v_fma_f16 v20, v20, v73, -v22
	v_mul_f16_sdwa v22, v23, v75 dst_sel:DWORD dst_unused:UNUSED_PAD src0_sel:WORD_1 src1_sel:DWORD
	s_waitcnt lgkmcnt(1)
	v_lshrrev_b32_e32 v76, 16, v43
	v_fma_f16 v22, v23, v40, v22
	v_mul_f16_sdwa v40, v23, v40 dst_sel:DWORD dst_unused:UNUSED_PAD src0_sel:WORD_1 src1_sel:DWORD
	v_fma_f16 v23, v23, v75, -v40
	v_mul_f16_sdwa v40, v24, v76 dst_sel:DWORD dst_unused:UNUSED_PAD src0_sel:WORD_1 src1_sel:DWORD
	s_waitcnt lgkmcnt(0)
	v_lshrrev_b32_e32 v78, 16, v45
	v_fma_f16 v40, v24, v43, v40
	v_mul_f16_sdwa v43, v24, v43 dst_sel:DWORD dst_unused:UNUSED_PAD src0_sel:WORD_1 src1_sel:DWORD
	ds_read2_b32 v[49:50], v57 offset0:234 offset1:247
	v_fma_f16 v24, v24, v76, -v43
	v_mul_f16_sdwa v43, v27, v78 dst_sel:DWORD dst_unused:UNUSED_PAD src0_sel:WORD_1 src1_sel:DWORD
	v_lshrrev_b32_e32 v79, 16, v44
	v_fma_f16 v43, v27, v45, v43
	v_mul_f16_sdwa v45, v27, v45 dst_sel:DWORD dst_unused:UNUSED_PAD src0_sel:WORD_1 src1_sel:DWORD
	ds_read2_b32 v[51:52], v57 offset0:156 offset1:169
	v_fma_f16 v27, v27, v78, -v45
	v_mul_f16_sdwa v45, v28, v79 dst_sel:DWORD dst_unused:UNUSED_PAD src0_sel:WORD_1 src1_sel:DWORD
	v_lshrrev_b32_e32 v87, 16, v46
	v_fma_f16 v45, v28, v44, v45
	v_mul_f16_sdwa v44, v28, v44 dst_sel:DWORD dst_unused:UNUSED_PAD src0_sel:WORD_1 src1_sel:DWORD
	v_fma_f16 v28, v28, v79, -v44
	v_mul_f16_sdwa v44, v25, v87 dst_sel:DWORD dst_unused:UNUSED_PAD src0_sel:WORD_1 src1_sel:DWORD
	s_waitcnt lgkmcnt(1)
	v_lshrrev_b32_e32 v88, 16, v49
	v_fma_f16 v44, v25, v46, v44
	v_mul_f16_sdwa v46, v25, v46 dst_sel:DWORD dst_unused:UNUSED_PAD src0_sel:WORD_1 src1_sel:DWORD
	v_fma_f16 v25, v25, v87, -v46
	v_mul_f16_sdwa v46, v26, v88 dst_sel:DWORD dst_unused:UNUSED_PAD src0_sel:WORD_1 src1_sel:DWORD
	s_waitcnt lgkmcnt(0)
	v_lshrrev_b32_e32 v91, 16, v51
	v_fma_f16 v46, v26, v49, v46
	v_mul_f16_sdwa v49, v26, v49 dst_sel:DWORD dst_unused:UNUSED_PAD src0_sel:WORD_1 src1_sel:DWORD
	ds_read_b32 v90, v57 offset:1040
	v_fma_f16 v26, v26, v88, -v49
	v_mul_f16_sdwa v49, v29, v91 dst_sel:DWORD dst_unused:UNUSED_PAD src0_sel:WORD_1 src1_sel:DWORD
	v_lshrrev_b32_e32 v92, 16, v50
	v_fma_f16 v49, v29, v51, v49
	v_mul_f16_sdwa v51, v29, v51 dst_sel:DWORD dst_unused:UNUSED_PAD src0_sel:WORD_1 src1_sel:DWORD
	v_fma_f16 v29, v29, v91, -v51
	v_mul_f16_sdwa v51, v30, v92 dst_sel:DWORD dst_unused:UNUSED_PAD src0_sel:WORD_1 src1_sel:DWORD
	v_lshrrev_b32_e32 v94, 16, v52
	v_fma_f16 v51, v30, v50, v51
	v_mul_f16_sdwa v50, v30, v50 dst_sel:DWORD dst_unused:UNUSED_PAD src0_sel:WORD_1 src1_sel:DWORD
	v_fma_f16 v30, v30, v92, -v50
	v_mul_f16_sdwa v50, v31, v94 dst_sel:DWORD dst_unused:UNUSED_PAD src0_sel:WORD_1 src1_sel:DWORD
	s_waitcnt lgkmcnt(0)
	v_lshrrev_b32_e32 v95, 16, v90
	v_fma_f16 v50, v31, v52, v50
	v_mul_f16_sdwa v52, v31, v52 dst_sel:DWORD dst_unused:UNUSED_PAD src0_sel:WORD_1 src1_sel:DWORD
	v_fma_f16 v31, v31, v94, -v52
	v_mul_f16_sdwa v52, v32, v95 dst_sel:DWORD dst_unused:UNUSED_PAD src0_sel:WORD_1 src1_sel:DWORD
	v_mul_f16_sdwa v72, v32, v90 dst_sel:DWORD dst_unused:UNUSED_PAD src0_sel:WORD_1 src1_sel:DWORD
	v_add_f16_e32 v73, v96, v54
	v_lshrrev_b32_e32 v53, 16, v15
	v_fma_f16 v52, v32, v90, v52
	v_fma_f16 v32, v32, v95, -v72
	v_add_f16_e32 v72, v15, v96
	v_fma_f16 v15, v73, -0.5, v15
	v_sub_f16_e32 v73, v18, v21
	s_mov_b32 s0, 0xbaee
	s_movk_i32 s1, 0x3aee
	ds_read2_b32 v[41:42], v57 offset0:26 offset1:39
	v_fma_f16 v75, v73, s0, v15
	v_fma_f16 v15, v73, s1, v15
	v_add_f16_e32 v73, v53, v18
	v_add_f16_e32 v18, v18, v21
	;; [unrolled: 1-line block ×4, first 2 shown]
	v_fma_f16 v18, v18, -0.5, v53
	v_sub_f16_e32 v21, v96, v54
	v_add_f16_e32 v54, v55, v39
	v_lshrrev_b32_e32 v56, 16, v16
	v_fma_f16 v53, v21, s1, v18
	v_fma_f16 v18, v21, s0, v18
	v_add_f16_e32 v21, v16, v55
	v_fma_f16 v16, v54, -0.5, v16
	v_sub_f16_e32 v54, v19, v20
	v_fma_f16 v76, v54, s0, v16
	v_fma_f16 v16, v54, s1, v16
	v_add_f16_e32 v54, v56, v19
	v_add_f16_e32 v19, v19, v20
	;; [unrolled: 1-line block ×3, first 2 shown]
	v_fma_f16 v19, v19, -0.5, v56
	v_sub_f16_e32 v20, v55, v39
	v_add_f16_e32 v55, v22, v40
	s_waitcnt lgkmcnt(0)
	v_lshrrev_b32_e32 v74, 16, v41
	v_add_f16_e32 v21, v21, v39
	v_fma_f16 v39, v20, s1, v19
	v_fma_f16 v19, v20, s0, v19
	v_add_f16_e32 v20, v41, v22
	v_fma_f16 v41, v55, -0.5, v41
	v_sub_f16_e32 v55, v23, v24
	ds_read2_b32 v[47:48], v57 offset0:52 offset1:65
	v_fma_f16 v56, v55, s0, v41
	v_fma_f16 v41, v55, s1, v41
	v_add_f16_e32 v55, v74, v23
	v_add_f16_e32 v23, v23, v24
	;; [unrolled: 1-line block ×3, first 2 shown]
	v_fma_f16 v23, v23, -0.5, v74
	v_sub_f16_e32 v22, v22, v40
	v_add_f16_e32 v40, v43, v45
	v_lshrrev_b32_e32 v77, 16, v42
	v_add_f16_e32 v55, v55, v24
	v_fma_f16 v24, v22, s1, v23
	v_fma_f16 v22, v22, s0, v23
	v_add_f16_e32 v23, v42, v43
	v_fma_f16 v40, v40, -0.5, v42
	v_sub_f16_e32 v42, v27, v28
	v_fma_f16 v74, v42, s0, v40
	v_fma_f16 v40, v42, s1, v40
	v_add_f16_e32 v42, v77, v27
	v_add_f16_e32 v27, v27, v28
	;; [unrolled: 1-line block ×4, first 2 shown]
	v_fma_f16 v27, v27, -0.5, v77
	v_sub_f16_e32 v28, v43, v45
	v_add_f16_e32 v45, v44, v46
	s_waitcnt lgkmcnt(0)
	v_lshrrev_b32_e32 v86, 16, v47
	v_fma_f16 v43, v28, s1, v27
	v_fma_f16 v27, v28, s0, v27
	v_add_f16_e32 v28, v47, v44
	v_fma_f16 v45, v45, -0.5, v47
	v_sub_f16_e32 v47, v25, v26
	v_fma_f16 v77, v47, s0, v45
	v_fma_f16 v45, v47, s1, v45
	v_add_f16_e32 v47, v86, v25
	v_add_f16_e32 v25, v25, v26
	;; [unrolled: 1-line block ×4, first 2 shown]
	v_fma_f16 v25, v25, -0.5, v86
	v_sub_f16_e32 v26, v44, v46
	v_add_f16_e32 v46, v49, v51
	v_lshrrev_b32_e32 v89, 16, v48
	v_fma_f16 v44, v26, s1, v25
	v_fma_f16 v25, v26, s0, v25
	v_add_f16_e32 v26, v48, v49
	v_fma_f16 v46, v46, -0.5, v48
	v_sub_f16_e32 v48, v29, v30
	v_fma_f16 v78, v48, s0, v46
	v_fma_f16 v46, v48, s1, v46
	v_add_f16_e32 v48, v89, v29
	v_add_f16_e32 v29, v29, v30
	v_add_f16_e32 v26, v26, v51
	v_add_f16_e32 v48, v48, v30
	v_fma_f16 v29, v29, -0.5, v89
	v_sub_f16_e32 v30, v49, v51
	v_add_f16_e32 v51, v50, v52
	v_lshrrev_b32_e32 v93, 16, v17
	v_fma_f16 v49, v30, s1, v29
	v_fma_f16 v29, v30, s0, v29
	v_add_f16_e32 v30, v17, v50
	v_fma_f16 v17, v51, -0.5, v17
	v_sub_f16_e32 v51, v31, v32
	v_fma_f16 v79, v51, s0, v17
	v_fma_f16 v17, v51, s1, v17
	v_add_f16_e32 v51, v93, v31
	v_add_f16_e32 v31, v31, v32
	v_pack_b32_f16 v15, v15, v18
	v_pack_b32_f16 v18, v21, v54
	v_add_f16_e32 v51, v51, v32
	v_fma_f16 v31, v31, -0.5, v93
	v_sub_f16_e32 v32, v50, v52
	s_waitcnt lgkmcnt(0)
	; wave barrier
	ds_write2_b32 v57, v15, v18 offset0:26 offset1:39
	v_pack_b32_f16 v15, v76, v39
	v_pack_b32_f16 v16, v16, v19
	v_add_f16_e32 v30, v30, v52
	v_fma_f16 v50, v32, s1, v31
	v_fma_f16 v31, v32, s0, v31
	v_pack_b32_f16 v32, v72, v73
	v_pack_b32_f16 v52, v75, v53
	ds_write2_b32 v57, v15, v16 offset0:52 offset1:65
	v_pack_b32_f16 v15, v20, v55
	v_pack_b32_f16 v16, v56, v24
	ds_write2_b32 v57, v32, v52 offset1:13
	ds_write2_b32 v80, v15, v16 offset0:78 offset1:91
	v_pack_b32_f16 v15, v41, v22
	ds_write_b32 v80, v15 offset:416
	v_pack_b32_f16 v15, v23, v42
	v_pack_b32_f16 v16, v74, v43
	ds_write2_b32 v81, v15, v16 offset0:117 offset1:130
	v_pack_b32_f16 v15, v40, v27
	ds_write_b32 v81, v15 offset:572
	v_pack_b32_f16 v15, v28, v47
	v_pack_b32_f16 v16, v77, v44
	;; [unrolled: 5-line block ×4, first 2 shown]
	ds_write2_b32 v84, v15, v16 offset0:234 offset1:247
	v_pack_b32_f16 v15, v17, v31
	ds_write_b32 v84, v15 offset:1040
	s_waitcnt lgkmcnt(0)
	; wave barrier
	s_waitcnt lgkmcnt(0)
	ds_read2_b32 v[15:16], v57 offset0:26 offset1:39
	ds_read2_b32 v[17:18], v57 offset0:78 offset1:91
	ds_read2_b32 v[19:20], v57 offset1:13
	ds_read2_b32 v[21:22], v57 offset0:104 offset1:117
	ds_read2_b32 v[23:24], v57 offset0:156 offset1:169
	s_waitcnt lgkmcnt(4)
	v_lshrrev_b32_e32 v41, 16, v16
	v_mul_f16_sdwa v75, v0, v41 dst_sel:DWORD dst_unused:UNUSED_PAD src0_sel:WORD_1 src1_sel:DWORD
	s_waitcnt lgkmcnt(3)
	v_lshrrev_b32_e32 v42, 16, v17
	v_fma_f16 v75, v0, v16, v75
	v_mul_f16_sdwa v16, v0, v16 dst_sel:DWORD dst_unused:UNUSED_PAD src0_sel:WORD_1 src1_sel:DWORD
	ds_read2_b32 v[25:26], v57 offset0:182 offset1:195
	v_fma_f16 v0, v0, v41, -v16
	v_mul_f16_sdwa v16, v1, v42 dst_sel:DWORD dst_unused:UNUSED_PAD src0_sel:WORD_1 src1_sel:DWORD
	s_waitcnt lgkmcnt(2)
	v_lshrrev_b32_e32 v43, 16, v22
	v_fma_f16 v16, v1, v17, v16
	v_mul_f16_sdwa v17, v1, v17 dst_sel:DWORD dst_unused:UNUSED_PAD src0_sel:WORD_1 src1_sel:DWORD
	ds_read2_b32 v[27:28], v57 offset0:234 offset1:247
	v_fma_f16 v1, v1, v42, -v17
	;; [unrolled: 7-line block ×3, first 2 shown]
	v_mul_f16_sdwa v22, v3, v44 dst_sel:DWORD dst_unused:UNUSED_PAD src0_sel:WORD_1 src1_sel:DWORD
	s_waitcnt lgkmcnt(2)
	v_lshrrev_b32_e32 v45, 16, v26
	v_fma_f16 v22, v3, v23, v22
	v_mul_f16_sdwa v23, v3, v23 dst_sel:DWORD dst_unused:UNUSED_PAD src0_sel:WORD_1 src1_sel:DWORD
	v_fma_f16 v3, v3, v44, -v23
	v_mul_f16_sdwa v23, v33, v45 dst_sel:DWORD dst_unused:UNUSED_PAD src0_sel:WORD_1 src1_sel:DWORD
	s_waitcnt lgkmcnt(1)
	v_lshrrev_b32_e32 v46, 16, v27
	v_fma_f16 v23, v33, v26, v23
	v_mul_f16_sdwa v26, v33, v26 dst_sel:DWORD dst_unused:UNUSED_PAD src0_sel:WORD_1 src1_sel:DWORD
	ds_read2_b32 v[31:32], v57 offset0:130 offset1:143
	v_fma_f16 v26, v33, v45, -v26
	v_mul_f16_sdwa v33, v34, v46 dst_sel:DWORD dst_unused:UNUSED_PAD src0_sel:WORD_1 src1_sel:DWORD
	s_waitcnt lgkmcnt(1)
	v_lshrrev_b32_e32 v47, 16, v29
	v_fma_f16 v33, v34, v27, v33
	v_mul_f16_sdwa v27, v34, v27 dst_sel:DWORD dst_unused:UNUSED_PAD src0_sel:WORD_1 src1_sel:DWORD
	v_fma_f16 v27, v34, v46, -v27
	v_mul_f16_sdwa v34, v4, v47 dst_sel:DWORD dst_unused:UNUSED_PAD src0_sel:WORD_1 src1_sel:DWORD
	v_lshrrev_b32_e32 v48, 16, v18
	v_fma_f16 v34, v4, v29, v34
	v_mul_f16_sdwa v29, v4, v29 dst_sel:DWORD dst_unused:UNUSED_PAD src0_sel:WORD_1 src1_sel:DWORD
	ds_read2_b32 v[39:40], v57 offset0:208 offset1:221
	v_fma_f16 v4, v4, v47, -v29
	v_mul_f16_sdwa v29, v5, v48 dst_sel:DWORD dst_unused:UNUSED_PAD src0_sel:WORD_1 src1_sel:DWORD
	s_waitcnt lgkmcnt(1)
	v_lshrrev_b32_e32 v49, 16, v31
	v_fma_f16 v29, v5, v18, v29
	v_mul_f16_sdwa v18, v5, v18 dst_sel:DWORD dst_unused:UNUSED_PAD src0_sel:WORD_1 src1_sel:DWORD
	v_fma_f16 v5, v5, v48, -v18
	v_mul_f16_sdwa v18, v6, v49 dst_sel:DWORD dst_unused:UNUSED_PAD src0_sel:WORD_1 src1_sel:DWORD
	v_lshrrev_b32_e32 v50, 16, v24
	v_fma_f16 v18, v6, v31, v18
	v_mul_f16_sdwa v31, v6, v31 dst_sel:DWORD dst_unused:UNUSED_PAD src0_sel:WORD_1 src1_sel:DWORD
	v_fma_f16 v6, v6, v49, -v31
	v_mul_f16_sdwa v31, v7, v50 dst_sel:DWORD dst_unused:UNUSED_PAD src0_sel:WORD_1 src1_sel:DWORD
	s_waitcnt lgkmcnt(0)
	v_lshrrev_b32_e32 v51, 16, v39
	v_fma_f16 v31, v7, v24, v31
	v_mul_f16_sdwa v24, v7, v24 dst_sel:DWORD dst_unused:UNUSED_PAD src0_sel:WORD_1 src1_sel:DWORD
	v_fma_f16 v7, v7, v50, -v24
	v_mul_f16_sdwa v24, v35, v51 dst_sel:DWORD dst_unused:UNUSED_PAD src0_sel:WORD_1 src1_sel:DWORD
	v_lshrrev_b32_e32 v52, 16, v28
	v_fma_f16 v24, v35, v39, v24
	v_mul_f16_sdwa v39, v35, v39 dst_sel:DWORD dst_unused:UNUSED_PAD src0_sel:WORD_1 src1_sel:DWORD
	v_fma_f16 v35, v35, v51, -v39
	v_mul_f16_sdwa v39, v36, v52 dst_sel:DWORD dst_unused:UNUSED_PAD src0_sel:WORD_1 src1_sel:DWORD
	;; [unrolled: 5-line block ×4, first 2 shown]
	v_lshrrev_b32_e32 v56, 16, v32
	v_fma_f16 v30, v9, v21, v30
	v_mul_f16_sdwa v21, v9, v21 dst_sel:DWORD dst_unused:UNUSED_PAD src0_sel:WORD_1 src1_sel:DWORD
	ds_read_b32 v54, v57 offset:1040
	v_fma_f16 v9, v9, v55, -v21
	v_mul_f16_sdwa v21, v10, v56 dst_sel:DWORD dst_unused:UNUSED_PAD src0_sel:WORD_1 src1_sel:DWORD
	v_lshrrev_b32_e32 v72, 16, v25
	v_fma_f16 v21, v10, v32, v21
	v_mul_f16_sdwa v32, v10, v32 dst_sel:DWORD dst_unused:UNUSED_PAD src0_sel:WORD_1 src1_sel:DWORD
	v_fma_f16 v10, v10, v56, -v32
	v_mul_f16_sdwa v32, v11, v72 dst_sel:DWORD dst_unused:UNUSED_PAD src0_sel:WORD_1 src1_sel:DWORD
	v_lshrrev_b32_e32 v73, 16, v40
	v_fma_f16 v32, v11, v25, v32
	v_mul_f16_sdwa v25, v11, v25 dst_sel:DWORD dst_unused:UNUSED_PAD src0_sel:WORD_1 src1_sel:DWORD
	v_fma_f16 v11, v11, v72, -v25
	v_mul_f16_sdwa v25, v37, v73 dst_sel:DWORD dst_unused:UNUSED_PAD src0_sel:WORD_1 src1_sel:DWORD
	s_waitcnt lgkmcnt(0)
	v_lshrrev_b32_e32 v74, 16, v54
	v_fma_f16 v25, v37, v40, v25
	v_mul_f16_sdwa v40, v37, v40 dst_sel:DWORD dst_unused:UNUSED_PAD src0_sel:WORD_1 src1_sel:DWORD
	v_fma_f16 v37, v37, v73, -v40
	v_mul_f16_sdwa v40, v38, v74 dst_sel:DWORD dst_unused:UNUSED_PAD src0_sel:WORD_1 src1_sel:DWORD
	v_mul_f16_sdwa v41, v38, v54 dst_sel:DWORD dst_unused:UNUSED_PAD src0_sel:WORD_1 src1_sel:DWORD
	v_fma_f16 v40, v38, v54, v40
	v_fma_f16 v38, v38, v74, -v41
	v_add_f16_e32 v41, v75, v33
	v_add_f16_e32 v42, v0, v27
	v_sub_f16_e32 v0, v0, v27
	v_add_f16_e32 v27, v16, v23
	v_add_f16_e32 v43, v1, v26
	v_sub_f16_e32 v33, v75, v33
	v_sub_f16_e32 v16, v16, v23
	;; [unrolled: 1-line block ×3, first 2 shown]
	v_add_f16_e32 v23, v17, v22
	v_add_f16_e32 v26, v2, v3
	v_sub_f16_e32 v17, v22, v17
	v_sub_f16_e32 v2, v3, v2
	v_add_f16_e32 v3, v27, v41
	v_add_f16_e32 v22, v43, v42
	v_sub_f16_e32 v44, v27, v41
	v_sub_f16_e32 v45, v43, v42
	;; [unrolled: 1-line block ×6, first 2 shown]
	v_add_f16_e32 v46, v17, v16
	v_add_f16_e32 v47, v2, v1
	v_sub_f16_e32 v48, v17, v16
	v_sub_f16_e32 v49, v2, v1
	;; [unrolled: 1-line block ×4, first 2 shown]
	v_add_f16_e32 v3, v23, v3
	v_add_f16_e32 v22, v26, v22
	v_sub_f16_e32 v17, v33, v17
	v_sub_f16_e32 v2, v0, v2
	v_add_f16_e32 v23, v46, v33
	v_add_f16_e32 v0, v47, v0
	;; [unrolled: 1-line block ×3, first 2 shown]
	v_add_f16_sdwa v19, v19, v22 dst_sel:DWORD dst_unused:UNUSED_PAD src0_sel:WORD_1 src1_sel:DWORD
	v_mul_f16_e32 v33, 0x3a52, v41
	v_mul_f16_e32 v41, 0x3a52, v42
	s_movk_i32 s0, 0x2b26
	v_mul_f16_e32 v42, 0x2b26, v27
	v_mul_f16_e32 v46, 0x2b26, v43
	v_mul_f16_e32 v47, 0x3846, v48
	v_mul_f16_e32 v48, 0x3846, v49
	s_mov_b32 s1, 0xbb00
	v_mul_f16_e32 v49, 0xbb00, v16
	v_mul_f16_e32 v50, 0xbb00, v1
	s_mov_b32 s2, 0xbcab
	s_movk_i32 s3, 0x39e0
	s_mov_b32 s4, 0xb9e0
	s_mov_b32 s5, 0xb574
	s_movk_i32 s12, 0x3574
	v_fma_f16 v3, v3, s2, v26
	v_fma_f16 v22, v22, s2, v19
	;; [unrolled: 1-line block ×4, first 2 shown]
	v_fma_f16 v42, v44, s3, -v42
	v_fma_f16 v46, v45, s3, -v46
	;; [unrolled: 1-line block ×4, first 2 shown]
	v_fma_f16 v44, v17, s5, v47
	v_fma_f16 v45, v2, s5, v48
	v_fma_f16 v1, v1, s1, -v48
	v_fma_f16 v17, v17, s12, -v49
	;; [unrolled: 1-line block ×3, first 2 shown]
	s_mov_b32 s13, 0xb70e
	v_fma_f16 v16, v16, s1, -v47
	v_add_f16_e32 v27, v27, v3
	v_add_f16_e32 v43, v43, v22
	;; [unrolled: 1-line block ×6, first 2 shown]
	v_fma_f16 v33, v23, s13, v44
	v_fma_f16 v41, v0, s13, v45
	;; [unrolled: 1-line block ×6, first 2 shown]
	v_add_f16_e32 v2, v41, v27
	v_sub_f16_e32 v23, v43, v33
	v_add_f16_e32 v44, v0, v3
	v_sub_f16_e32 v45, v22, v17
	v_sub_f16_e32 v0, v3, v0
	v_add_f16_e32 v3, v17, v22
	v_sub_f16_e32 v17, v27, v41
	v_add_f16_e32 v22, v33, v43
	v_add_f16_e32 v27, v34, v39
	;; [unrolled: 1-line block ×3, first 2 shown]
	v_sub_f16_e32 v34, v34, v39
	v_sub_f16_e32 v4, v4, v28
	v_add_f16_e32 v28, v29, v24
	v_add_f16_e32 v39, v5, v35
	v_sub_f16_e32 v24, v29, v24
	v_sub_f16_e32 v5, v5, v35
	v_add_f16_e32 v29, v18, v31
	v_add_f16_e32 v35, v6, v7
	;; [unrolled: 4-line block ×3, first 2 shown]
	v_sub_f16_e32 v47, v42, v1
	v_add_f16_e32 v48, v16, v46
	v_add_f16_e32 v1, v1, v42
	v_sub_f16_e32 v16, v46, v16
	v_sub_f16_e32 v41, v28, v27
	;; [unrolled: 1-line block ×7, first 2 shown]
	v_add_f16_e32 v43, v18, v24
	v_add_f16_e32 v46, v6, v5
	v_sub_f16_e32 v49, v18, v24
	v_sub_f16_e32 v50, v6, v5
	v_add_f16_e32 v7, v29, v7
	v_add_f16_e32 v29, v35, v31
	v_sub_f16_e32 v18, v34, v18
	v_sub_f16_e32 v6, v4, v6
	;; [unrolled: 1-line block ×4, first 2 shown]
	v_add_f16_e32 v31, v43, v34
	v_add_f16_e32 v4, v46, v4
	;; [unrolled: 1-line block ×3, first 2 shown]
	v_add_f16_sdwa v20, v20, v29 dst_sel:DWORD dst_unused:UNUSED_PAD src0_sel:WORD_1 src1_sel:DWORD
	v_mul_f16_e32 v27, 0x3a52, v27
	v_mul_f16_e32 v33, 0x3a52, v33
	;; [unrolled: 1-line block ×8, first 2 shown]
	v_fma_f16 v7, v7, s2, v34
	v_fma_f16 v29, v29, s2, v20
	v_fma_f16 v28, v28, s0, v27
	v_fma_f16 v39, v39, s0, v33
	v_fma_f16 v35, v41, s3, -v35
	v_fma_f16 v43, v42, s3, -v43
	;; [unrolled: 1-line block ×4, first 2 shown]
	v_fma_f16 v41, v18, s5, v46
	v_fma_f16 v42, v6, s5, v49
	v_fma_f16 v24, v24, s1, -v46
	v_fma_f16 v5, v5, s1, -v49
	v_fma_f16 v18, v18, s12, -v50
	v_fma_f16 v6, v6, s12, -v51
	v_add_f16_e32 v28, v28, v7
	v_add_f16_e32 v39, v39, v29
	;; [unrolled: 1-line block ×6, first 2 shown]
	v_fma_f16 v29, v31, s13, v41
	v_fma_f16 v33, v4, s13, v42
	;; [unrolled: 1-line block ×6, first 2 shown]
	v_add_f16_e32 v6, v33, v28
	v_sub_f16_e32 v31, v39, v29
	v_add_f16_e32 v41, v4, v7
	v_sub_f16_e32 v42, v27, v18
	v_sub_f16_e32 v46, v35, v5
	v_add_f16_e32 v5, v5, v35
	v_sub_f16_e32 v4, v7, v4
	v_add_f16_e32 v7, v18, v27
	v_sub_f16_e32 v18, v28, v33
	v_add_f16_e32 v27, v29, v39
	v_add_f16_e32 v28, v36, v40
	v_add_f16_e32 v29, v8, v38
	v_sub_f16_e32 v33, v36, v40
	v_add_f16_e32 v35, v30, v25
	v_add_f16_e32 v36, v9, v37
	v_pack_b32_f16 v2, v2, v23
	v_pack_b32_f16 v23, v44, v45
	;; [unrolled: 1-line block ×3, first 2 shown]
	v_add_f16_e32 v49, v24, v43
	v_sub_f16_e32 v8, v8, v38
	v_sub_f16_e32 v25, v30, v25
	;; [unrolled: 1-line block ×3, first 2 shown]
	v_add_f16_e32 v30, v21, v32
	v_add_f16_e32 v37, v10, v11
	v_sub_f16_e32 v21, v32, v21
	v_sub_f16_e32 v10, v11, v10
	v_add_f16_e32 v11, v35, v28
	v_add_f16_e32 v32, v36, v29
	v_pack_b32_f16 v19, v26, v19
	v_pack_b32_f16 v26, v47, v48
	ds_write2_b32 v57, v6, v23 offset0:52 offset1:78
	v_pack_b32_f16 v6, v41, v42
	v_sub_f16_e32 v24, v43, v24
	v_sub_f16_e32 v38, v35, v28
	;; [unrolled: 1-line block ×7, first 2 shown]
	v_add_f16_e32 v40, v21, v25
	v_add_f16_e32 v43, v10, v9
	v_sub_f16_e32 v50, v21, v25
	v_sub_f16_e32 v51, v10, v9
	;; [unrolled: 1-line block ×4, first 2 shown]
	v_add_f16_e32 v11, v30, v11
	v_add_f16_e32 v30, v37, v32
	v_pack_b32_f16 v1, v1, v16
	ds_write2_b32 v57, v6, v26 offset0:91 offset1:117
	v_pack_b32_f16 v6, v46, v49
	v_sub_f16_e32 v21, v33, v21
	v_sub_f16_e32 v10, v8, v10
	v_add_f16_e32 v32, v40, v33
	v_add_f16_e32 v8, v43, v8
	;; [unrolled: 1-line block ×3, first 2 shown]
	v_add_f16_sdwa v15, v15, v30 dst_sel:DWORD dst_unused:UNUSED_PAD src0_sel:WORD_1 src1_sel:DWORD
	v_mul_f16_e32 v28, 0x3a52, v28
	v_mul_f16_e32 v29, 0x3a52, v29
	;; [unrolled: 1-line block ×8, first 2 shown]
	v_pack_b32_f16 v0, v0, v3
	ds_write2_b32 v57, v6, v1 offset0:130 offset1:156
	v_pack_b32_f16 v1, v5, v24
	v_fma_f16 v11, v11, s2, v33
	v_fma_f16 v30, v30, s2, v15
	;; [unrolled: 1-line block ×4, first 2 shown]
	v_fma_f16 v37, v38, s3, -v37
	v_fma_f16 v40, v39, s3, -v40
	;; [unrolled: 1-line block ×4, first 2 shown]
	v_fma_f16 v38, v21, s5, v43
	v_fma_f16 v39, v10, s5, v50
	v_fma_f16 v9, v9, s1, -v50
	v_fma_f16 v21, v21, s12, -v51
	;; [unrolled: 1-line block ×3, first 2 shown]
	v_pack_b32_f16 v3, v17, v22
	ds_write2_b32 v57, v1, v0 offset0:169 offset1:195
	v_pack_b32_f16 v0, v4, v7
	v_fma_f16 v25, v25, s1, -v43
	v_add_f16_e32 v35, v35, v11
	v_add_f16_e32 v36, v36, v30
	;; [unrolled: 1-line block ×6, first 2 shown]
	v_fma_f16 v29, v32, s13, v38
	v_fma_f16 v30, v8, s13, v39
	;; [unrolled: 1-line block ×5, first 2 shown]
	ds_write2_b32 v57, v0, v3 offset0:208 offset1:234
	v_pack_b32_f16 v0, v18, v27
	v_fma_f16 v25, v32, s13, v25
	v_add_f16_e32 v10, v30, v35
	v_sub_f16_e32 v32, v36, v29
	v_add_f16_e32 v38, v8, v11
	v_sub_f16_e32 v39, v28, v21
	ds_write_b32 v57, v0 offset:988
	v_pack_b32_f16 v0, v33, v15
	v_sub_f16_e32 v43, v37, v9
	v_add_f16_e32 v50, v25, v40
	v_add_f16_e32 v9, v9, v37
	v_sub_f16_e32 v25, v40, v25
	ds_write2_b32 v57, v0, v2 offset0:26 offset1:39
	v_pack_b32_f16 v0, v10, v32
	v_pack_b32_f16 v1, v38, v39
	v_sub_f16_e32 v8, v11, v8
	v_add_f16_e32 v11, v21, v28
	v_sub_f16_e32 v21, v35, v30
	v_add_f16_e32 v28, v29, v36
	ds_write2_b32 v85, v0, v1 offset0:39 offset1:78
	v_pack_b32_f16 v0, v43, v50
	v_pack_b32_f16 v1, v9, v25
	;; [unrolled: 1-line block ×3, first 2 shown]
	ds_write2_b32 v85, v0, v1 offset0:117 offset1:156
	v_pack_b32_f16 v0, v8, v11
	v_pack_b32_f16 v1, v21, v28
	ds_write2_b32 v57, v19, v16 offset1:13
	ds_write2_b32 v85, v0, v1 offset0:195 offset1:234
	s_waitcnt lgkmcnt(0)
	; wave barrier
	s_waitcnt lgkmcnt(0)
	ds_read2_b32 v[0:1], v57 offset1:21
	s_mov_b32 s12, 0x1e01e01e
	s_mov_b32 s13, 0x3f6e01e0
	v_mad_u64_u32 v[3:4], s[0:1], s10, v14, 0
	s_waitcnt lgkmcnt(0)
	v_lshrrev_b32_e32 v9, 16, v0
	v_mul_f16_sdwa v2, v71, v9 dst_sel:DWORD dst_unused:UNUSED_PAD src0_sel:WORD_1 src1_sel:DWORD
	v_fma_f16 v2, v71, v0, v2
	v_cvt_f32_f16_e32 v2, v2
	s_movk_i32 s15, 0x1ff
	s_movk_i32 s10, 0xffe
	v_mul_f16_sdwa v0, v71, v0 dst_sel:DWORD dst_unused:UNUSED_PAD src0_sel:WORD_1 src1_sel:DWORD
	v_cvt_f64_f32_e32 v[5:6], v2
	v_mov_b32_e32 v2, v4
	v_mad_u64_u32 v[7:8], s[0:1], s11, v14, v[2:3]
	v_mul_f64 v[5:6], v[5:6], s[12:13]
	v_fma_f16 v0, v71, v9, -v0
	v_mov_b32_e32 v4, v7
	v_cvt_f32_f16_e32 v0, v0
	s_movk_i32 s11, 0x40f
	s_mov_b32 s14, 0x8000
	v_lshlrev_b64 v[3:4], 2, v[3:4]
	v_and_or_b32 v2, v6, s15, v5
	v_cmp_ne_u32_e64 s[0:1], 0, v2
	v_cndmask_b32_e64 v2, 0, 1, s[0:1]
	v_lshrrev_b32_e32 v5, 8, v6
	v_bfe_u32 v7, v6, 20, 11
	v_and_or_b32 v5, v5, s10, v2
	v_sub_u32_e32 v8, 0x3f1, v7
	v_or_b32_e32 v2, 0x1000, v5
	v_med3_i32 v8, v8, 0, 13
	v_lshrrev_b32_e32 v10, v8, v2
	v_lshlrev_b32_e32 v8, v8, v10
	v_cmp_ne_u32_e64 s[0:1], v8, v2
	v_cndmask_b32_e64 v2, 0, 1, s[0:1]
	v_or_b32_e32 v2, v10, v2
	v_add_u32_e32 v10, 0xfffffc10, v7
	v_lshl_or_b32 v7, v10, 12, v5
	v_cmp_gt_i32_e64 s[0:1], 1, v10
	v_cndmask_b32_e64 v2, v7, v2, s[0:1]
	v_and_b32_e32 v7, 7, v2
	v_cmp_lt_i32_e64 s[0:1], 5, v7
	v_cmp_eq_u32_e64 s[2:3], 3, v7
	v_cvt_f64_f32_e32 v[7:8], v0
	v_lshrrev_b32_e32 v2, 2, v2
	s_or_b64 s[0:1], s[2:3], s[0:1]
	v_addc_co_u32_e64 v9, s[0:1], 0, v2, s[0:1]
	v_mul_f64 v[7:8], v[7:8], s[12:13]
	v_mov_b32_e32 v2, 0x7c00
	v_cmp_gt_i32_e64 s[0:1], 31, v10
	v_cndmask_b32_e64 v0, v2, v9, s[0:1]
	v_cmp_ne_u32_e64 s[0:1], 0, v5
	v_cndmask_b32_e64 v5, 0, 1, s[0:1]
	v_lshl_or_b32 v5, v5, 9, v2
	v_cmp_eq_u32_e64 s[0:1], s11, v10
	v_cndmask_b32_e64 v0, v0, v5, s[0:1]
	v_lshrrev_b32_e32 v5, 16, v6
	v_and_or_b32 v9, v5, s14, v0
	v_and_or_b32 v0, v8, s15, v7
	v_cmp_ne_u32_e64 s[0:1], 0, v0
	v_cndmask_b32_e64 v0, 0, 1, s[0:1]
	v_lshrrev_b32_e32 v5, 8, v8
	v_bfe_u32 v6, v8, 20, 11
	v_and_or_b32 v0, v5, s10, v0
	v_sub_u32_e32 v7, 0x3f1, v6
	v_or_b32_e32 v5, 0x1000, v0
	v_med3_i32 v7, v7, 0, 13
	v_lshrrev_b32_e32 v10, v7, v5
	v_lshlrev_b32_e32 v7, v7, v10
	v_cmp_ne_u32_e64 s[0:1], v7, v5
	v_cndmask_b32_e64 v5, 0, 1, s[0:1]
	v_add_u32_e32 v7, 0xfffffc10, v6
	v_or_b32_e32 v5, v10, v5
	v_lshl_or_b32 v6, v7, 12, v0
	v_cmp_gt_i32_e64 s[0:1], 1, v7
	v_cndmask_b32_e64 v5, v6, v5, s[0:1]
	v_and_b32_e32 v6, 7, v5
	v_cmp_lt_i32_e64 s[0:1], 5, v6
	v_cmp_eq_u32_e64 s[2:3], 3, v6
	v_lshrrev_b32_e32 v5, 2, v5
	s_or_b64 s[0:1], s[2:3], s[0:1]
	v_addc_co_u32_e64 v5, s[0:1], 0, v5, s[0:1]
	v_cmp_gt_i32_e64 s[0:1], 31, v7
	v_cndmask_b32_e64 v10, v2, v5, s[0:1]
	v_cmp_ne_u32_e64 s[0:1], 0, v0
	v_cndmask_b32_e64 v0, 0, 1, s[0:1]
	v_mad_u64_u32 v[5:6], s[0:1], s8, v58, 0
	v_lshl_or_b32 v0, v0, 9, v2
	v_cmp_eq_u32_e64 s[0:1], s11, v7
	v_cndmask_b32_e64 v10, v10, v0, s[0:1]
	v_mov_b32_e32 v0, v6
	v_mad_u64_u32 v[6:7], s[0:1], s9, v58, v[0:1]
	v_lshrrev_b32_e32 v0, 16, v1
	v_mul_f16_sdwa v7, v70, v0 dst_sel:DWORD dst_unused:UNUSED_PAD src0_sel:WORD_1 src1_sel:DWORD
	v_fma_f16 v7, v70, v1, v7
	v_cvt_f32_f16_e32 v7, v7
	v_lshrrev_b32_e32 v8, 16, v8
	v_and_or_b32 v10, v8, s14, v10
	v_and_b32_e32 v9, 0xffff, v9
	v_cvt_f64_f32_e32 v[7:8], v7
	v_lshl_or_b32 v9, v10, 16, v9
	v_mov_b32_e32 v10, s7
	v_add_co_u32_e64 v3, s[0:1], s6, v3
	v_mul_f64 v[7:8], v[7:8], s[12:13]
	v_lshlrev_b64 v[5:6], 2, v[5:6]
	v_addc_co_u32_e64 v4, s[0:1], v10, v4, s[0:1]
	v_add_co_u32_e64 v5, s[0:1], v3, v5
	v_addc_co_u32_e64 v6, s[0:1], v4, v6, s[0:1]
	v_and_or_b32 v7, v8, s15, v7
	v_mul_f16_sdwa v1, v70, v1 dst_sel:DWORD dst_unused:UNUSED_PAD src0_sel:WORD_1 src1_sel:DWORD
	v_cmp_ne_u32_e64 s[0:1], 0, v7
	v_fma_f16 v0, v70, v0, -v1
	global_store_dword v[5:6], v9, off
	v_cndmask_b32_e64 v7, 0, 1, s[0:1]
	v_lshrrev_b32_e32 v9, 8, v8
	v_bfe_u32 v10, v8, 20, 11
	v_cvt_f32_f16_e32 v0, v0
	v_and_or_b32 v7, v9, s10, v7
	v_sub_u32_e32 v11, 0x3f1, v10
	v_or_b32_e32 v9, 0x1000, v7
	v_med3_i32 v11, v11, 0, 13
	v_lshrrev_b32_e32 v14, v11, v9
	v_lshlrev_b32_e32 v11, v11, v14
	v_cvt_f64_f32_e32 v[0:1], v0
	v_cmp_ne_u32_e64 s[0:1], v11, v9
	v_cndmask_b32_e64 v9, 0, 1, s[0:1]
	v_add_u32_e32 v10, 0xfffffc10, v10
	v_or_b32_e32 v9, v14, v9
	v_lshl_or_b32 v11, v10, 12, v7
	v_cmp_gt_i32_e64 s[0:1], 1, v10
	v_cndmask_b32_e64 v9, v11, v9, s[0:1]
	v_mul_f64 v[0:1], v[0:1], s[12:13]
	v_and_b32_e32 v11, 7, v9
	v_cmp_lt_i32_e64 s[0:1], 5, v11
	v_cmp_eq_u32_e64 s[2:3], 3, v11
	v_lshrrev_b32_e32 v9, 2, v9
	s_or_b64 s[0:1], s[2:3], s[0:1]
	v_addc_co_u32_e64 v9, s[0:1], 0, v9, s[0:1]
	v_cmp_gt_i32_e64 s[0:1], 31, v10
	v_cndmask_b32_e64 v9, v2, v9, s[0:1]
	v_cmp_ne_u32_e64 s[0:1], 0, v7
	v_cndmask_b32_e64 v7, 0, 1, s[0:1]
	v_lshl_or_b32 v7, v7, 9, v2
	v_cmp_eq_u32_e64 s[0:1], s11, v10
	v_and_or_b32 v0, v1, s15, v0
	v_cndmask_b32_e64 v7, v9, v7, s[0:1]
	v_lshrrev_b32_e32 v8, 16, v8
	v_cmp_ne_u32_e64 s[0:1], 0, v0
	v_and_or_b32 v9, v8, s14, v7
	v_cndmask_b32_e64 v0, 0, 1, s[0:1]
	v_lshrrev_b32_e32 v7, 8, v1
	v_bfe_u32 v8, v1, 20, 11
	v_and_or_b32 v0, v7, s10, v0
	v_sub_u32_e32 v10, 0x3f1, v8
	v_or_b32_e32 v7, 0x1000, v0
	v_med3_i32 v10, v10, 0, 13
	v_lshrrev_b32_e32 v11, v10, v7
	v_lshlrev_b32_e32 v10, v10, v11
	v_cmp_ne_u32_e64 s[0:1], v10, v7
	v_cndmask_b32_e64 v7, 0, 1, s[0:1]
	v_add_u32_e32 v10, 0xfffffc10, v8
	v_or_b32_e32 v7, v11, v7
	v_lshl_or_b32 v8, v10, 12, v0
	v_cmp_gt_i32_e64 s[0:1], 1, v10
	v_cndmask_b32_e64 v7, v8, v7, s[0:1]
	v_and_b32_e32 v8, 7, v7
	v_cmp_lt_i32_e64 s[0:1], 5, v8
	v_cmp_eq_u32_e64 s[2:3], 3, v8
	v_lshrrev_b32_e32 v7, 2, v7
	s_or_b64 s[0:1], s[2:3], s[0:1]
	v_addc_co_u32_e64 v7, s[0:1], 0, v7, s[0:1]
	v_cmp_gt_i32_e64 s[0:1], 31, v10
	v_cndmask_b32_e64 v11, v2, v7, s[0:1]
	ds_read2_b32 v[7:8], v57 offset0:42 offset1:63
	v_cmp_ne_u32_e64 s[0:1], 0, v0
	v_cndmask_b32_e64 v0, 0, 1, s[0:1]
	v_lshl_or_b32 v0, v0, 9, v2
	v_cmp_eq_u32_e64 s[0:1], s11, v10
	v_cndmask_b32_e64 v0, v11, v0, s[0:1]
	v_lshrrev_b32_e32 v1, 16, v1
	s_waitcnt lgkmcnt(0)
	v_lshrrev_b32_e32 v11, 16, v7
	v_and_or_b32 v10, v1, s14, v0
	v_mul_f16_sdwa v0, v69, v11 dst_sel:DWORD dst_unused:UNUSED_PAD src0_sel:WORD_1 src1_sel:DWORD
	v_fma_f16 v0, v69, v7, v0
	v_cvt_f32_f16_e32 v0, v0
	v_and_b32_e32 v9, 0xffff, v9
	v_lshl_or_b32 v14, v10, 16, v9
	s_mul_i32 s0, s9, 21
	v_cvt_f64_f32_e32 v[0:1], v0
	s_mul_hi_u32 s1, s8, 21
	s_add_i32 s1, s1, s0
	s_mul_i32 s0, s8, 21
	v_mul_f64 v[9:10], v[0:1], s[12:13]
	s_lshl_b64 s[6:7], s[0:1], 2
	v_mov_b32_e32 v1, s7
	v_add_co_u32_e64 v5, s[0:1], s6, v5
	v_addc_co_u32_e64 v6, s[0:1], v6, v1, s[0:1]
	global_store_dword v[5:6], v14, off
	v_and_or_b32 v0, v10, s15, v9
	v_cmp_ne_u32_e64 s[0:1], 0, v0
	v_cndmask_b32_e64 v0, 0, 1, s[0:1]
	v_lshrrev_b32_e32 v9, 8, v10
	v_bfe_u32 v14, v10, 20, 11
	v_and_or_b32 v0, v9, s10, v0
	v_sub_u32_e32 v15, 0x3f1, v14
	v_or_b32_e32 v9, 0x1000, v0
	v_med3_i32 v15, v15, 0, 13
	v_lshrrev_b32_e32 v16, v15, v9
	v_lshlrev_b32_e32 v15, v15, v16
	v_cmp_ne_u32_e64 s[0:1], v15, v9
	v_mul_f16_sdwa v7, v69, v7 dst_sel:DWORD dst_unused:UNUSED_PAD src0_sel:WORD_1 src1_sel:DWORD
	v_cndmask_b32_e64 v9, 0, 1, s[0:1]
	v_fma_f16 v7, v69, v11, -v7
	v_or_b32_e32 v9, v16, v9
	v_add_u32_e32 v16, 0xfffffc10, v14
	v_cvt_f32_f16_e32 v7, v7
	v_lshl_or_b32 v14, v16, 12, v0
	v_cmp_gt_i32_e64 s[0:1], 1, v16
	v_cndmask_b32_e64 v9, v14, v9, s[0:1]
	v_and_b32_e32 v14, 7, v9
	v_cmp_lt_i32_e64 s[0:1], 5, v14
	v_cmp_eq_u32_e64 s[2:3], 3, v14
	v_cvt_f64_f32_e32 v[14:15], v7
	v_lshrrev_b32_e32 v9, 2, v9
	s_or_b64 s[0:1], s[2:3], s[0:1]
	v_addc_co_u32_e64 v7, s[0:1], 0, v9, s[0:1]
	v_mul_f64 v[14:15], v[14:15], s[12:13]
	v_cmp_gt_i32_e64 s[0:1], 31, v16
	v_cndmask_b32_e64 v7, v2, v7, s[0:1]
	v_cmp_ne_u32_e64 s[0:1], 0, v0
	v_cndmask_b32_e64 v0, 0, 1, s[0:1]
	v_lshl_or_b32 v0, v0, 9, v2
	v_cmp_eq_u32_e64 s[0:1], s11, v16
	v_cndmask_b32_e64 v0, v7, v0, s[0:1]
	v_lshrrev_b32_e32 v7, 16, v10
	v_and_or_b32 v0, v7, s14, v0
	v_and_or_b32 v7, v15, s15, v14
	v_cmp_ne_u32_e64 s[0:1], 0, v7
	v_cndmask_b32_e64 v7, 0, 1, s[0:1]
	v_lshrrev_b32_e32 v9, 8, v15
	v_bfe_u32 v10, v15, 20, 11
	v_and_or_b32 v7, v9, s10, v7
	v_sub_u32_e32 v11, 0x3f1, v10
	v_or_b32_e32 v9, 0x1000, v7
	v_med3_i32 v11, v11, 0, 13
	v_lshrrev_b32_e32 v14, v11, v9
	v_lshlrev_b32_e32 v11, v11, v14
	v_cmp_ne_u32_e64 s[0:1], v11, v9
	v_cndmask_b32_e64 v9, 0, 1, s[0:1]
	v_add_u32_e32 v11, 0xfffffc10, v10
	v_or_b32_e32 v9, v14, v9
	v_lshl_or_b32 v10, v11, 12, v7
	v_cmp_gt_i32_e64 s[0:1], 1, v11
	v_cndmask_b32_e64 v9, v10, v9, s[0:1]
	v_and_b32_e32 v10, 7, v9
	v_cmp_lt_i32_e64 s[0:1], 5, v10
	v_cmp_eq_u32_e64 s[2:3], 3, v10
	v_lshrrev_b32_e32 v9, 2, v9
	s_or_b64 s[0:1], s[2:3], s[0:1]
	v_addc_co_u32_e64 v9, s[0:1], 0, v9, s[0:1]
	v_cmp_gt_i32_e64 s[0:1], 31, v11
	v_lshrrev_b32_e32 v16, 16, v8
	v_cndmask_b32_e64 v14, v2, v9, s[0:1]
	v_mul_f16_sdwa v9, v68, v16 dst_sel:DWORD dst_unused:UNUSED_PAD src0_sel:WORD_1 src1_sel:DWORD
	v_fma_f16 v9, v68, v8, v9
	v_cvt_f32_f16_e32 v9, v9
	v_cmp_ne_u32_e64 s[0:1], 0, v7
	v_cndmask_b32_e64 v7, 0, 1, s[0:1]
	v_lshl_or_b32 v7, v7, 9, v2
	v_cvt_f64_f32_e32 v[9:10], v9
	v_cmp_eq_u32_e64 s[0:1], s11, v11
	v_cndmask_b32_e64 v7, v14, v7, s[0:1]
	v_lshrrev_b32_e32 v11, 16, v15
	v_mul_f64 v[9:10], v[9:10], s[12:13]
	v_and_or_b32 v7, v11, s14, v7
	v_and_b32_e32 v0, 0xffff, v0
	v_add_co_u32_e64 v5, s[0:1], s6, v5
	v_lshl_or_b32 v0, v7, 16, v0
	v_addc_co_u32_e64 v6, s[0:1], v6, v1, s[0:1]
	global_store_dword v[5:6], v0, off
	v_and_or_b32 v0, v10, s15, v9
	v_cmp_ne_u32_e64 s[0:1], 0, v0
	v_cndmask_b32_e64 v0, 0, 1, s[0:1]
	v_lshrrev_b32_e32 v7, 8, v10
	v_bfe_u32 v9, v10, 20, 11
	v_and_or_b32 v0, v7, s10, v0
	v_sub_u32_e32 v11, 0x3f1, v9
	v_or_b32_e32 v7, 0x1000, v0
	v_med3_i32 v11, v11, 0, 13
	v_lshrrev_b32_e32 v14, v11, v7
	v_lshlrev_b32_e32 v11, v11, v14
	v_mul_f16_sdwa v8, v68, v8 dst_sel:DWORD dst_unused:UNUSED_PAD src0_sel:WORD_1 src1_sel:DWORD
	v_cmp_ne_u32_e64 s[0:1], v11, v7
	v_fma_f16 v8, v68, v16, -v8
	v_cndmask_b32_e64 v7, 0, 1, s[0:1]
	v_add_u32_e32 v9, 0xfffffc10, v9
	v_cvt_f32_f16_e32 v8, v8
	v_or_b32_e32 v7, v14, v7
	v_lshl_or_b32 v11, v9, 12, v0
	v_cmp_gt_i32_e64 s[0:1], 1, v9
	v_cndmask_b32_e64 v7, v11, v7, s[0:1]
	v_and_b32_e32 v11, 7, v7
	v_cmp_lt_i32_e64 s[0:1], 5, v11
	v_cmp_eq_u32_e64 s[2:3], 3, v11
	v_lshrrev_b32_e32 v11, 2, v7
	v_cvt_f64_f32_e32 v[7:8], v8
	s_or_b64 s[0:1], s[2:3], s[0:1]
	v_addc_co_u32_e64 v11, s[0:1], 0, v11, s[0:1]
	v_mul_f64 v[7:8], v[7:8], s[12:13]
	v_cmp_gt_i32_e64 s[0:1], 31, v9
	v_cndmask_b32_e64 v11, v2, v11, s[0:1]
	v_cmp_ne_u32_e64 s[0:1], 0, v0
	v_cndmask_b32_e64 v0, 0, 1, s[0:1]
	v_lshl_or_b32 v0, v0, 9, v2
	v_cmp_eq_u32_e64 s[0:1], s11, v9
	v_cndmask_b32_e64 v0, v11, v0, s[0:1]
	v_and_or_b32 v7, v8, s15, v7
	v_lshrrev_b32_e32 v9, 16, v10
	v_cmp_ne_u32_e64 s[0:1], 0, v7
	v_and_or_b32 v0, v9, s14, v0
	v_cndmask_b32_e64 v7, 0, 1, s[0:1]
	v_lshrrev_b32_e32 v9, 8, v8
	v_bfe_u32 v10, v8, 20, 11
	v_and_or_b32 v7, v9, s10, v7
	v_sub_u32_e32 v11, 0x3f1, v10
	v_or_b32_e32 v9, 0x1000, v7
	v_med3_i32 v11, v11, 0, 13
	v_lshrrev_b32_e32 v14, v11, v9
	v_lshlrev_b32_e32 v11, v11, v14
	v_cmp_ne_u32_e64 s[0:1], v11, v9
	v_cndmask_b32_e64 v9, 0, 1, s[0:1]
	v_add_u32_e32 v11, 0xfffffc10, v10
	v_or_b32_e32 v9, v14, v9
	v_lshl_or_b32 v10, v11, 12, v7
	v_cmp_gt_i32_e64 s[0:1], 1, v11
	v_cndmask_b32_e64 v9, v10, v9, s[0:1]
	v_and_b32_e32 v10, 7, v9
	v_cmp_lt_i32_e64 s[0:1], 5, v10
	v_cmp_eq_u32_e64 s[2:3], 3, v10
	v_lshrrev_b32_e32 v14, 2, v9
	ds_read2_b32 v[9:10], v57 offset0:84 offset1:105
	s_or_b64 s[0:1], s[2:3], s[0:1]
	v_addc_co_u32_e64 v14, s[0:1], 0, v14, s[0:1]
	v_cmp_gt_i32_e64 s[0:1], 31, v11
	s_waitcnt lgkmcnt(0)
	v_lshrrev_b32_e32 v17, 16, v9
	v_cndmask_b32_e64 v16, v2, v14, s[0:1]
	v_mul_f16_sdwa v14, v67, v17 dst_sel:DWORD dst_unused:UNUSED_PAD src0_sel:WORD_1 src1_sel:DWORD
	v_fma_f16 v14, v67, v9, v14
	v_cvt_f32_f16_e32 v14, v14
	v_cmp_ne_u32_e64 s[0:1], 0, v7
	v_cndmask_b32_e64 v7, 0, 1, s[0:1]
	v_lshl_or_b32 v7, v7, 9, v2
	v_cvt_f64_f32_e32 v[14:15], v14
	v_cmp_eq_u32_e64 s[0:1], s11, v11
	v_cndmask_b32_e64 v7, v16, v7, s[0:1]
	v_lshrrev_b32_e32 v8, 16, v8
	v_and_or_b32 v11, v8, s14, v7
	v_mul_f64 v[7:8], v[14:15], s[12:13]
	v_and_b32_e32 v0, 0xffff, v0
	v_add_co_u32_e64 v5, s[0:1], s6, v5
	v_lshl_or_b32 v0, v11, 16, v0
	v_addc_co_u32_e64 v6, s[0:1], v6, v1, s[0:1]
	global_store_dword v[5:6], v0, off
	v_and_or_b32 v0, v8, s15, v7
	v_cmp_ne_u32_e64 s[0:1], 0, v0
	v_cndmask_b32_e64 v0, 0, 1, s[0:1]
	v_lshrrev_b32_e32 v7, 8, v8
	v_bfe_u32 v11, v8, 20, 11
	v_and_or_b32 v0, v7, s10, v0
	v_sub_u32_e32 v14, 0x3f1, v11
	v_or_b32_e32 v7, 0x1000, v0
	v_med3_i32 v14, v14, 0, 13
	v_lshrrev_b32_e32 v15, v14, v7
	v_lshlrev_b32_e32 v14, v14, v15
	v_mul_f16_sdwa v9, v67, v9 dst_sel:DWORD dst_unused:UNUSED_PAD src0_sel:WORD_1 src1_sel:DWORD
	v_cmp_ne_u32_e64 s[0:1], v14, v7
	v_fma_f16 v9, v67, v17, -v9
	v_cndmask_b32_e64 v7, 0, 1, s[0:1]
	v_add_u32_e32 v11, 0xfffffc10, v11
	v_cvt_f32_f16_e32 v9, v9
	v_or_b32_e32 v7, v15, v7
	v_lshl_or_b32 v14, v11, 12, v0
	v_cmp_gt_i32_e64 s[0:1], 1, v11
	v_cndmask_b32_e64 v7, v14, v7, s[0:1]
	v_and_b32_e32 v14, 7, v7
	v_cmp_lt_i32_e64 s[0:1], 5, v14
	v_cmp_eq_u32_e64 s[2:3], 3, v14
	v_cvt_f64_f32_e32 v[14:15], v9
	v_lshrrev_b32_e32 v7, 2, v7
	s_or_b64 s[0:1], s[2:3], s[0:1]
	v_addc_co_u32_e64 v7, s[0:1], 0, v7, s[0:1]
	v_mul_f64 v[14:15], v[14:15], s[12:13]
	v_cmp_gt_i32_e64 s[0:1], 31, v11
	v_cndmask_b32_e64 v7, v2, v7, s[0:1]
	v_cmp_ne_u32_e64 s[0:1], 0, v0
	v_cndmask_b32_e64 v0, 0, 1, s[0:1]
	v_lshl_or_b32 v0, v0, 9, v2
	v_cmp_eq_u32_e64 s[0:1], s11, v11
	v_cndmask_b32_e64 v0, v7, v0, s[0:1]
	v_lshrrev_b32_e32 v7, 16, v8
	v_and_or_b32 v0, v7, s14, v0
	v_and_or_b32 v7, v15, s15, v14
	v_cmp_ne_u32_e64 s[0:1], 0, v7
	v_cndmask_b32_e64 v7, 0, 1, s[0:1]
	v_lshrrev_b32_e32 v8, 8, v15
	v_bfe_u32 v9, v15, 20, 11
	v_and_or_b32 v7, v8, s10, v7
	v_sub_u32_e32 v11, 0x3f1, v9
	v_or_b32_e32 v8, 0x1000, v7
	v_med3_i32 v11, v11, 0, 13
	v_lshrrev_b32_e32 v14, v11, v8
	v_lshlrev_b32_e32 v11, v11, v14
	v_cmp_ne_u32_e64 s[0:1], v11, v8
	v_cndmask_b32_e64 v8, 0, 1, s[0:1]
	v_add_u32_e32 v9, 0xfffffc10, v9
	v_or_b32_e32 v8, v14, v8
	v_lshl_or_b32 v11, v9, 12, v7
	v_cmp_gt_i32_e64 s[0:1], 1, v9
	v_cndmask_b32_e64 v8, v11, v8, s[0:1]
	v_and_b32_e32 v11, 7, v8
	v_cmp_lt_i32_e64 s[0:1], 5, v11
	v_cmp_eq_u32_e64 s[2:3], 3, v11
	v_lshrrev_b32_e32 v8, 2, v8
	s_or_b64 s[0:1], s[2:3], s[0:1]
	v_addc_co_u32_e64 v8, s[0:1], 0, v8, s[0:1]
	v_cmp_gt_i32_e64 s[0:1], 31, v9
	v_lshrrev_b32_e32 v14, 16, v10
	v_cndmask_b32_e64 v11, v2, v8, s[0:1]
	v_mul_f16_sdwa v8, v66, v14 dst_sel:DWORD dst_unused:UNUSED_PAD src0_sel:WORD_1 src1_sel:DWORD
	v_fma_f16 v8, v66, v10, v8
	v_cvt_f32_f16_e32 v8, v8
	v_cmp_ne_u32_e64 s[0:1], 0, v7
	v_cndmask_b32_e64 v7, 0, 1, s[0:1]
	v_lshl_or_b32 v16, v7, 9, v2
	v_cvt_f64_f32_e32 v[7:8], v8
	v_cmp_eq_u32_e64 s[0:1], s11, v9
	v_cndmask_b32_e64 v9, v11, v16, s[0:1]
	v_lshrrev_b32_e32 v11, 16, v15
	v_mul_f64 v[7:8], v[7:8], s[12:13]
	v_and_or_b32 v9, v11, s14, v9
	v_and_b32_e32 v0, 0xffff, v0
	v_add_co_u32_e64 v5, s[0:1], s6, v5
	v_lshl_or_b32 v0, v9, 16, v0
	v_addc_co_u32_e64 v6, s[0:1], v6, v1, s[0:1]
	global_store_dword v[5:6], v0, off
	v_and_or_b32 v0, v8, s15, v7
	v_cmp_ne_u32_e64 s[0:1], 0, v0
	v_cndmask_b32_e64 v0, 0, 1, s[0:1]
	v_lshrrev_b32_e32 v7, 8, v8
	v_bfe_u32 v9, v8, 20, 11
	v_and_or_b32 v0, v7, s10, v0
	v_sub_u32_e32 v11, 0x3f1, v9
	v_or_b32_e32 v7, 0x1000, v0
	v_med3_i32 v11, v11, 0, 13
	v_lshrrev_b32_e32 v15, v11, v7
	v_lshlrev_b32_e32 v11, v11, v15
	v_mul_f16_sdwa v10, v66, v10 dst_sel:DWORD dst_unused:UNUSED_PAD src0_sel:WORD_1 src1_sel:DWORD
	v_cmp_ne_u32_e64 s[0:1], v11, v7
	v_fma_f16 v10, v66, v14, -v10
	v_cndmask_b32_e64 v7, 0, 1, s[0:1]
	v_add_u32_e32 v11, 0xfffffc10, v9
	v_cvt_f32_f16_e32 v10, v10
	v_or_b32_e32 v7, v15, v7
	v_lshl_or_b32 v9, v11, 12, v0
	v_cmp_gt_i32_e64 s[0:1], 1, v11
	v_cndmask_b32_e64 v7, v9, v7, s[0:1]
	v_and_b32_e32 v9, 7, v7
	v_cmp_lt_i32_e64 s[0:1], 5, v9
	v_cmp_eq_u32_e64 s[2:3], 3, v9
	v_cvt_f64_f32_e32 v[9:10], v10
	v_lshrrev_b32_e32 v7, 2, v7
	s_or_b64 s[0:1], s[2:3], s[0:1]
	v_addc_co_u32_e64 v7, s[0:1], 0, v7, s[0:1]
	v_mul_f64 v[9:10], v[9:10], s[12:13]
	v_cmp_gt_i32_e64 s[0:1], 31, v11
	v_cndmask_b32_e64 v7, v2, v7, s[0:1]
	v_cmp_ne_u32_e64 s[0:1], 0, v0
	v_cndmask_b32_e64 v0, 0, 1, s[0:1]
	v_lshl_or_b32 v0, v0, 9, v2
	v_cmp_eq_u32_e64 s[0:1], s11, v11
	v_cndmask_b32_e64 v0, v7, v0, s[0:1]
	v_lshrrev_b32_e32 v7, 16, v8
	v_and_or_b32 v0, v7, s14, v0
	v_and_or_b32 v7, v10, s15, v9
	v_cmp_ne_u32_e64 s[0:1], 0, v7
	v_cndmask_b32_e64 v7, 0, 1, s[0:1]
	v_lshrrev_b32_e32 v8, 8, v10
	v_and_or_b32 v9, v8, s10, v7
	v_bfe_u32 v8, v10, 20, 11
	v_sub_u32_e32 v11, 0x3f1, v8
	v_or_b32_e32 v7, 0x1000, v9
	v_med3_i32 v11, v11, 0, 13
	v_lshrrev_b32_e32 v14, v11, v7
	v_lshlrev_b32_e32 v11, v11, v14
	v_cmp_ne_u32_e64 s[0:1], v11, v7
	v_cndmask_b32_e64 v7, 0, 1, s[0:1]
	v_add_u32_e32 v11, 0xfffffc10, v8
	v_or_b32_e32 v7, v14, v7
	v_lshl_or_b32 v8, v11, 12, v9
	v_cmp_gt_i32_e64 s[0:1], 1, v11
	v_cndmask_b32_e64 v7, v8, v7, s[0:1]
	v_and_b32_e32 v8, 7, v7
	v_cmp_lt_i32_e64 s[0:1], 5, v8
	v_cmp_eq_u32_e64 s[2:3], 3, v8
	v_lshrrev_b32_e32 v14, 2, v7
	ds_read2_b32 v[7:8], v57 offset0:126 offset1:147
	s_or_b64 s[0:1], s[2:3], s[0:1]
	v_addc_co_u32_e64 v14, s[0:1], 0, v14, s[0:1]
	v_cmp_gt_i32_e64 s[0:1], 31, v11
	s_waitcnt lgkmcnt(0)
	v_lshrrev_b32_e32 v17, 16, v7
	v_cndmask_b32_e64 v16, v2, v14, s[0:1]
	v_mul_f16_sdwa v14, v65, v17 dst_sel:DWORD dst_unused:UNUSED_PAD src0_sel:WORD_1 src1_sel:DWORD
	v_fma_f16 v14, v65, v7, v14
	v_cvt_f32_f16_e32 v14, v14
	v_cmp_ne_u32_e64 s[0:1], 0, v9
	v_cndmask_b32_e64 v9, 0, 1, s[0:1]
	v_lshl_or_b32 v9, v9, 9, v2
	v_cvt_f64_f32_e32 v[14:15], v14
	v_cmp_eq_u32_e64 s[0:1], s11, v11
	v_cndmask_b32_e64 v9, v16, v9, s[0:1]
	v_lshrrev_b32_e32 v10, 16, v10
	v_and_or_b32 v11, v10, s14, v9
	v_mul_f64 v[9:10], v[14:15], s[12:13]
	v_and_b32_e32 v0, 0xffff, v0
	v_add_co_u32_e64 v5, s[0:1], s6, v5
	v_lshl_or_b32 v0, v11, 16, v0
	v_addc_co_u32_e64 v6, s[0:1], v6, v1, s[0:1]
	global_store_dword v[5:6], v0, off
	v_and_or_b32 v0, v10, s15, v9
	v_cmp_ne_u32_e64 s[0:1], 0, v0
	v_cndmask_b32_e64 v0, 0, 1, s[0:1]
	v_lshrrev_b32_e32 v9, 8, v10
	v_bfe_u32 v11, v10, 20, 11
	v_and_or_b32 v0, v9, s10, v0
	v_sub_u32_e32 v14, 0x3f1, v11
	v_or_b32_e32 v9, 0x1000, v0
	v_med3_i32 v14, v14, 0, 13
	v_lshrrev_b32_e32 v15, v14, v9
	v_lshlrev_b32_e32 v14, v14, v15
	v_mul_f16_sdwa v7, v65, v7 dst_sel:DWORD dst_unused:UNUSED_PAD src0_sel:WORD_1 src1_sel:DWORD
	v_cmp_ne_u32_e64 s[0:1], v14, v9
	v_fma_f16 v7, v65, v17, -v7
	v_cndmask_b32_e64 v9, 0, 1, s[0:1]
	v_add_u32_e32 v11, 0xfffffc10, v11
	v_cvt_f32_f16_e32 v7, v7
	v_or_b32_e32 v9, v15, v9
	v_lshl_or_b32 v14, v11, 12, v0
	v_cmp_gt_i32_e64 s[0:1], 1, v11
	v_cndmask_b32_e64 v9, v14, v9, s[0:1]
	v_and_b32_e32 v14, 7, v9
	v_cmp_lt_i32_e64 s[0:1], 5, v14
	v_cmp_eq_u32_e64 s[2:3], 3, v14
	v_cvt_f64_f32_e32 v[14:15], v7
	v_lshrrev_b32_e32 v9, 2, v9
	s_or_b64 s[0:1], s[2:3], s[0:1]
	v_addc_co_u32_e64 v7, s[0:1], 0, v9, s[0:1]
	v_mul_f64 v[14:15], v[14:15], s[12:13]
	v_cmp_gt_i32_e64 s[0:1], 31, v11
	v_cndmask_b32_e64 v7, v2, v7, s[0:1]
	v_cmp_ne_u32_e64 s[0:1], 0, v0
	v_cndmask_b32_e64 v0, 0, 1, s[0:1]
	v_lshl_or_b32 v0, v0, 9, v2
	v_cmp_eq_u32_e64 s[0:1], s11, v11
	v_cndmask_b32_e64 v0, v7, v0, s[0:1]
	v_lshrrev_b32_e32 v7, 16, v10
	v_and_or_b32 v0, v7, s14, v0
	v_and_or_b32 v7, v15, s15, v14
	v_cmp_ne_u32_e64 s[0:1], 0, v7
	v_cndmask_b32_e64 v7, 0, 1, s[0:1]
	v_lshrrev_b32_e32 v9, 8, v15
	v_bfe_u32 v10, v15, 20, 11
	v_and_or_b32 v7, v9, s10, v7
	v_sub_u32_e32 v11, 0x3f1, v10
	v_or_b32_e32 v9, 0x1000, v7
	v_med3_i32 v11, v11, 0, 13
	v_lshrrev_b32_e32 v14, v11, v9
	v_lshlrev_b32_e32 v11, v11, v14
	v_cmp_ne_u32_e64 s[0:1], v11, v9
	v_cndmask_b32_e64 v9, 0, 1, s[0:1]
	v_add_u32_e32 v11, 0xfffffc10, v10
	v_or_b32_e32 v9, v14, v9
	v_lshl_or_b32 v10, v11, 12, v7
	v_cmp_gt_i32_e64 s[0:1], 1, v11
	v_cndmask_b32_e64 v9, v10, v9, s[0:1]
	v_and_b32_e32 v10, 7, v9
	v_cmp_lt_i32_e64 s[0:1], 5, v10
	v_cmp_eq_u32_e64 s[2:3], 3, v10
	v_lshrrev_b32_e32 v9, 2, v9
	s_or_b64 s[0:1], s[2:3], s[0:1]
	v_addc_co_u32_e64 v9, s[0:1], 0, v9, s[0:1]
	v_cmp_gt_i32_e64 s[0:1], 31, v11
	v_lshrrev_b32_e32 v16, 16, v8
	v_cndmask_b32_e64 v14, v2, v9, s[0:1]
	v_mul_f16_sdwa v9, v64, v16 dst_sel:DWORD dst_unused:UNUSED_PAD src0_sel:WORD_1 src1_sel:DWORD
	v_fma_f16 v9, v64, v8, v9
	v_cvt_f32_f16_e32 v9, v9
	v_cmp_ne_u32_e64 s[0:1], 0, v7
	v_cndmask_b32_e64 v7, 0, 1, s[0:1]
	v_lshl_or_b32 v7, v7, 9, v2
	v_cvt_f64_f32_e32 v[9:10], v9
	v_cmp_eq_u32_e64 s[0:1], s11, v11
	v_cndmask_b32_e64 v7, v14, v7, s[0:1]
	v_lshrrev_b32_e32 v11, 16, v15
	v_mul_f64 v[9:10], v[9:10], s[12:13]
	v_and_or_b32 v7, v11, s14, v7
	v_and_b32_e32 v0, 0xffff, v0
	v_add_co_u32_e64 v5, s[0:1], s6, v5
	v_lshl_or_b32 v0, v7, 16, v0
	v_addc_co_u32_e64 v6, s[0:1], v6, v1, s[0:1]
	global_store_dword v[5:6], v0, off
	v_and_or_b32 v0, v10, s15, v9
	v_cmp_ne_u32_e64 s[0:1], 0, v0
	v_cndmask_b32_e64 v0, 0, 1, s[0:1]
	v_lshrrev_b32_e32 v7, 8, v10
	v_bfe_u32 v9, v10, 20, 11
	v_and_or_b32 v0, v7, s10, v0
	v_sub_u32_e32 v11, 0x3f1, v9
	v_or_b32_e32 v7, 0x1000, v0
	v_med3_i32 v11, v11, 0, 13
	v_lshrrev_b32_e32 v14, v11, v7
	v_lshlrev_b32_e32 v11, v11, v14
	v_mul_f16_sdwa v8, v64, v8 dst_sel:DWORD dst_unused:UNUSED_PAD src0_sel:WORD_1 src1_sel:DWORD
	v_cmp_ne_u32_e64 s[0:1], v11, v7
	v_fma_f16 v8, v64, v16, -v8
	v_cndmask_b32_e64 v7, 0, 1, s[0:1]
	v_add_u32_e32 v9, 0xfffffc10, v9
	v_cvt_f32_f16_e32 v8, v8
	v_or_b32_e32 v7, v14, v7
	v_lshl_or_b32 v11, v9, 12, v0
	v_cmp_gt_i32_e64 s[0:1], 1, v9
	v_cndmask_b32_e64 v7, v11, v7, s[0:1]
	v_and_b32_e32 v11, 7, v7
	v_cmp_lt_i32_e64 s[0:1], 5, v11
	v_cmp_eq_u32_e64 s[2:3], 3, v11
	v_lshrrev_b32_e32 v11, 2, v7
	v_cvt_f64_f32_e32 v[7:8], v8
	s_or_b64 s[0:1], s[2:3], s[0:1]
	v_addc_co_u32_e64 v11, s[0:1], 0, v11, s[0:1]
	v_mul_f64 v[7:8], v[7:8], s[12:13]
	v_cmp_gt_i32_e64 s[0:1], 31, v9
	v_cndmask_b32_e64 v11, v2, v11, s[0:1]
	v_cmp_ne_u32_e64 s[0:1], 0, v0
	v_cndmask_b32_e64 v0, 0, 1, s[0:1]
	v_lshl_or_b32 v0, v0, 9, v2
	v_cmp_eq_u32_e64 s[0:1], s11, v9
	v_cndmask_b32_e64 v0, v11, v0, s[0:1]
	v_and_or_b32 v7, v8, s15, v7
	v_lshrrev_b32_e32 v9, 16, v10
	v_cmp_ne_u32_e64 s[0:1], 0, v7
	v_and_or_b32 v0, v9, s14, v0
	v_cndmask_b32_e64 v7, 0, 1, s[0:1]
	v_lshrrev_b32_e32 v9, 8, v8
	v_bfe_u32 v10, v8, 20, 11
	v_and_or_b32 v7, v9, s10, v7
	v_sub_u32_e32 v11, 0x3f1, v10
	v_or_b32_e32 v9, 0x1000, v7
	v_med3_i32 v11, v11, 0, 13
	v_lshrrev_b32_e32 v14, v11, v9
	v_lshlrev_b32_e32 v11, v11, v14
	v_cmp_ne_u32_e64 s[0:1], v11, v9
	v_cndmask_b32_e64 v9, 0, 1, s[0:1]
	v_add_u32_e32 v11, 0xfffffc10, v10
	v_or_b32_e32 v9, v14, v9
	v_lshl_or_b32 v10, v11, 12, v7
	v_cmp_gt_i32_e64 s[0:1], 1, v11
	v_cndmask_b32_e64 v9, v10, v9, s[0:1]
	v_and_b32_e32 v10, 7, v9
	v_cmp_lt_i32_e64 s[0:1], 5, v10
	v_cmp_eq_u32_e64 s[2:3], 3, v10
	v_lshrrev_b32_e32 v14, 2, v9
	ds_read2_b32 v[9:10], v57 offset0:168 offset1:189
	s_or_b64 s[0:1], s[2:3], s[0:1]
	v_addc_co_u32_e64 v14, s[0:1], 0, v14, s[0:1]
	v_cmp_gt_i32_e64 s[0:1], 31, v11
	s_waitcnt lgkmcnt(0)
	v_lshrrev_b32_e32 v17, 16, v9
	v_cndmask_b32_e64 v16, v2, v14, s[0:1]
	v_mul_f16_sdwa v14, v63, v17 dst_sel:DWORD dst_unused:UNUSED_PAD src0_sel:WORD_1 src1_sel:DWORD
	v_fma_f16 v14, v63, v9, v14
	v_cvt_f32_f16_e32 v14, v14
	v_cmp_ne_u32_e64 s[0:1], 0, v7
	v_cndmask_b32_e64 v7, 0, 1, s[0:1]
	v_lshl_or_b32 v7, v7, 9, v2
	v_cvt_f64_f32_e32 v[14:15], v14
	v_cmp_eq_u32_e64 s[0:1], s11, v11
	v_cndmask_b32_e64 v7, v16, v7, s[0:1]
	v_lshrrev_b32_e32 v8, 16, v8
	v_and_or_b32 v11, v8, s14, v7
	v_mul_f64 v[7:8], v[14:15], s[12:13]
	v_and_b32_e32 v0, 0xffff, v0
	v_add_co_u32_e64 v5, s[0:1], s6, v5
	v_lshl_or_b32 v0, v11, 16, v0
	v_addc_co_u32_e64 v6, s[0:1], v6, v1, s[0:1]
	global_store_dword v[5:6], v0, off
	v_and_or_b32 v0, v8, s15, v7
	v_cmp_ne_u32_e64 s[0:1], 0, v0
	v_cndmask_b32_e64 v0, 0, 1, s[0:1]
	v_lshrrev_b32_e32 v7, 8, v8
	v_bfe_u32 v11, v8, 20, 11
	v_and_or_b32 v0, v7, s10, v0
	v_sub_u32_e32 v14, 0x3f1, v11
	v_or_b32_e32 v7, 0x1000, v0
	v_med3_i32 v14, v14, 0, 13
	v_lshrrev_b32_e32 v15, v14, v7
	v_lshlrev_b32_e32 v14, v14, v15
	v_mul_f16_sdwa v9, v63, v9 dst_sel:DWORD dst_unused:UNUSED_PAD src0_sel:WORD_1 src1_sel:DWORD
	v_cmp_ne_u32_e64 s[0:1], v14, v7
	v_fma_f16 v9, v63, v17, -v9
	v_cndmask_b32_e64 v7, 0, 1, s[0:1]
	v_add_u32_e32 v11, 0xfffffc10, v11
	v_cvt_f32_f16_e32 v9, v9
	v_or_b32_e32 v7, v15, v7
	v_lshl_or_b32 v14, v11, 12, v0
	v_cmp_gt_i32_e64 s[0:1], 1, v11
	v_cndmask_b32_e64 v7, v14, v7, s[0:1]
	v_and_b32_e32 v14, 7, v7
	v_cmp_lt_i32_e64 s[0:1], 5, v14
	v_cmp_eq_u32_e64 s[2:3], 3, v14
	v_cvt_f64_f32_e32 v[14:15], v9
	v_lshrrev_b32_e32 v7, 2, v7
	s_or_b64 s[0:1], s[2:3], s[0:1]
	v_addc_co_u32_e64 v7, s[0:1], 0, v7, s[0:1]
	v_mul_f64 v[14:15], v[14:15], s[12:13]
	v_cmp_gt_i32_e64 s[0:1], 31, v11
	v_cndmask_b32_e64 v7, v2, v7, s[0:1]
	v_cmp_ne_u32_e64 s[0:1], 0, v0
	v_cndmask_b32_e64 v0, 0, 1, s[0:1]
	v_lshl_or_b32 v0, v0, 9, v2
	v_cmp_eq_u32_e64 s[0:1], s11, v11
	v_cndmask_b32_e64 v0, v7, v0, s[0:1]
	v_lshrrev_b32_e32 v7, 16, v8
	v_and_or_b32 v0, v7, s14, v0
	v_and_or_b32 v7, v15, s15, v14
	v_cmp_ne_u32_e64 s[0:1], 0, v7
	v_cndmask_b32_e64 v7, 0, 1, s[0:1]
	v_lshrrev_b32_e32 v8, 8, v15
	v_bfe_u32 v9, v15, 20, 11
	v_and_or_b32 v7, v8, s10, v7
	v_sub_u32_e32 v11, 0x3f1, v9
	v_or_b32_e32 v8, 0x1000, v7
	v_med3_i32 v11, v11, 0, 13
	v_lshrrev_b32_e32 v14, v11, v8
	v_lshlrev_b32_e32 v11, v11, v14
	v_cmp_ne_u32_e64 s[0:1], v11, v8
	v_cndmask_b32_e64 v8, 0, 1, s[0:1]
	v_add_u32_e32 v9, 0xfffffc10, v9
	v_or_b32_e32 v8, v14, v8
	v_lshl_or_b32 v11, v9, 12, v7
	v_cmp_gt_i32_e64 s[0:1], 1, v9
	v_cndmask_b32_e64 v8, v11, v8, s[0:1]
	v_and_b32_e32 v11, 7, v8
	v_cmp_lt_i32_e64 s[0:1], 5, v11
	v_cmp_eq_u32_e64 s[2:3], 3, v11
	v_lshrrev_b32_e32 v8, 2, v8
	s_or_b64 s[0:1], s[2:3], s[0:1]
	v_addc_co_u32_e64 v8, s[0:1], 0, v8, s[0:1]
	v_cmp_gt_i32_e64 s[0:1], 31, v9
	v_lshrrev_b32_e32 v14, 16, v10
	v_cndmask_b32_e64 v11, v2, v8, s[0:1]
	v_mul_f16_sdwa v8, v62, v14 dst_sel:DWORD dst_unused:UNUSED_PAD src0_sel:WORD_1 src1_sel:DWORD
	v_fma_f16 v8, v62, v10, v8
	v_cvt_f32_f16_e32 v8, v8
	v_cmp_ne_u32_e64 s[0:1], 0, v7
	v_cndmask_b32_e64 v7, 0, 1, s[0:1]
	v_lshl_or_b32 v16, v7, 9, v2
	v_cvt_f64_f32_e32 v[7:8], v8
	v_cmp_eq_u32_e64 s[0:1], s11, v9
	v_cndmask_b32_e64 v9, v11, v16, s[0:1]
	v_lshrrev_b32_e32 v11, 16, v15
	v_mul_f64 v[7:8], v[7:8], s[12:13]
	v_and_or_b32 v9, v11, s14, v9
	v_and_b32_e32 v0, 0xffff, v0
	v_add_co_u32_e64 v5, s[0:1], s6, v5
	v_lshl_or_b32 v0, v9, 16, v0
	v_addc_co_u32_e64 v6, s[0:1], v6, v1, s[0:1]
	global_store_dword v[5:6], v0, off
	v_and_or_b32 v0, v8, s15, v7
	v_cmp_ne_u32_e64 s[0:1], 0, v0
	v_cndmask_b32_e64 v0, 0, 1, s[0:1]
	v_lshrrev_b32_e32 v7, 8, v8
	v_bfe_u32 v9, v8, 20, 11
	v_and_or_b32 v0, v7, s10, v0
	v_sub_u32_e32 v11, 0x3f1, v9
	v_or_b32_e32 v7, 0x1000, v0
	v_med3_i32 v11, v11, 0, 13
	v_lshrrev_b32_e32 v15, v11, v7
	v_lshlrev_b32_e32 v11, v11, v15
	v_mul_f16_sdwa v10, v62, v10 dst_sel:DWORD dst_unused:UNUSED_PAD src0_sel:WORD_1 src1_sel:DWORD
	v_cmp_ne_u32_e64 s[0:1], v11, v7
	v_fma_f16 v10, v62, v14, -v10
	v_cndmask_b32_e64 v7, 0, 1, s[0:1]
	v_add_u32_e32 v11, 0xfffffc10, v9
	v_cvt_f32_f16_e32 v10, v10
	v_or_b32_e32 v7, v15, v7
	v_lshl_or_b32 v9, v11, 12, v0
	v_cmp_gt_i32_e64 s[0:1], 1, v11
	v_cndmask_b32_e64 v7, v9, v7, s[0:1]
	v_and_b32_e32 v9, 7, v7
	v_cmp_lt_i32_e64 s[0:1], 5, v9
	v_cmp_eq_u32_e64 s[2:3], 3, v9
	v_cvt_f64_f32_e32 v[9:10], v10
	v_lshrrev_b32_e32 v7, 2, v7
	s_or_b64 s[0:1], s[2:3], s[0:1]
	v_addc_co_u32_e64 v7, s[0:1], 0, v7, s[0:1]
	v_mul_f64 v[9:10], v[9:10], s[12:13]
	v_cmp_gt_i32_e64 s[0:1], 31, v11
	v_cndmask_b32_e64 v7, v2, v7, s[0:1]
	v_cmp_ne_u32_e64 s[0:1], 0, v0
	v_cndmask_b32_e64 v0, 0, 1, s[0:1]
	v_lshl_or_b32 v0, v0, 9, v2
	v_cmp_eq_u32_e64 s[0:1], s11, v11
	v_cndmask_b32_e64 v0, v7, v0, s[0:1]
	v_lshrrev_b32_e32 v7, 16, v8
	v_and_or_b32 v0, v7, s14, v0
	v_and_or_b32 v7, v10, s15, v9
	v_cmp_ne_u32_e64 s[0:1], 0, v7
	v_cndmask_b32_e64 v7, 0, 1, s[0:1]
	v_lshrrev_b32_e32 v8, 8, v10
	v_and_or_b32 v9, v8, s10, v7
	v_bfe_u32 v8, v10, 20, 11
	v_sub_u32_e32 v11, 0x3f1, v8
	v_or_b32_e32 v7, 0x1000, v9
	v_med3_i32 v11, v11, 0, 13
	v_lshrrev_b32_e32 v14, v11, v7
	v_lshlrev_b32_e32 v11, v11, v14
	v_cmp_ne_u32_e64 s[0:1], v11, v7
	v_cndmask_b32_e64 v7, 0, 1, s[0:1]
	v_add_u32_e32 v11, 0xfffffc10, v8
	v_or_b32_e32 v7, v14, v7
	v_lshl_or_b32 v8, v11, 12, v9
	v_cmp_gt_i32_e64 s[0:1], 1, v11
	v_cndmask_b32_e64 v7, v8, v7, s[0:1]
	v_and_b32_e32 v8, 7, v7
	v_cmp_lt_i32_e64 s[0:1], 5, v8
	v_cmp_eq_u32_e64 s[2:3], 3, v8
	v_lshrrev_b32_e32 v14, 2, v7
	ds_read2_b32 v[7:8], v57 offset0:210 offset1:231
	s_or_b64 s[0:1], s[2:3], s[0:1]
	v_addc_co_u32_e64 v14, s[0:1], 0, v14, s[0:1]
	v_cmp_gt_i32_e64 s[0:1], 31, v11
	s_waitcnt lgkmcnt(0)
	v_lshrrev_b32_e32 v17, 16, v7
	v_cndmask_b32_e64 v16, v2, v14, s[0:1]
	v_mul_f16_sdwa v14, v61, v17 dst_sel:DWORD dst_unused:UNUSED_PAD src0_sel:WORD_1 src1_sel:DWORD
	v_fma_f16 v14, v61, v7, v14
	v_cvt_f32_f16_e32 v14, v14
	v_cmp_ne_u32_e64 s[0:1], 0, v9
	v_cndmask_b32_e64 v9, 0, 1, s[0:1]
	v_lshl_or_b32 v9, v9, 9, v2
	v_cvt_f64_f32_e32 v[14:15], v14
	v_cmp_eq_u32_e64 s[0:1], s11, v11
	v_cndmask_b32_e64 v9, v16, v9, s[0:1]
	v_lshrrev_b32_e32 v10, 16, v10
	v_and_or_b32 v11, v10, s14, v9
	v_mul_f64 v[9:10], v[14:15], s[12:13]
	v_and_b32_e32 v0, 0xffff, v0
	v_add_co_u32_e64 v5, s[0:1], s6, v5
	v_lshl_or_b32 v0, v11, 16, v0
	v_addc_co_u32_e64 v6, s[0:1], v6, v1, s[0:1]
	global_store_dword v[5:6], v0, off
	v_and_or_b32 v0, v10, s15, v9
	v_cmp_ne_u32_e64 s[0:1], 0, v0
	v_cndmask_b32_e64 v0, 0, 1, s[0:1]
	v_lshrrev_b32_e32 v9, 8, v10
	v_bfe_u32 v11, v10, 20, 11
	v_and_or_b32 v0, v9, s10, v0
	v_sub_u32_e32 v14, 0x3f1, v11
	v_or_b32_e32 v9, 0x1000, v0
	v_med3_i32 v14, v14, 0, 13
	v_lshrrev_b32_e32 v15, v14, v9
	v_lshlrev_b32_e32 v14, v14, v15
	v_mul_f16_sdwa v7, v61, v7 dst_sel:DWORD dst_unused:UNUSED_PAD src0_sel:WORD_1 src1_sel:DWORD
	v_cmp_ne_u32_e64 s[0:1], v14, v9
	v_fma_f16 v7, v61, v17, -v7
	v_cndmask_b32_e64 v9, 0, 1, s[0:1]
	v_add_u32_e32 v11, 0xfffffc10, v11
	v_cvt_f32_f16_e32 v7, v7
	v_or_b32_e32 v9, v15, v9
	v_lshl_or_b32 v14, v11, 12, v0
	v_cmp_gt_i32_e64 s[0:1], 1, v11
	v_cndmask_b32_e64 v9, v14, v9, s[0:1]
	v_and_b32_e32 v14, 7, v9
	v_cmp_lt_i32_e64 s[0:1], 5, v14
	v_cmp_eq_u32_e64 s[2:3], 3, v14
	v_cvt_f64_f32_e32 v[14:15], v7
	v_lshrrev_b32_e32 v9, 2, v9
	s_or_b64 s[0:1], s[2:3], s[0:1]
	v_addc_co_u32_e64 v7, s[0:1], 0, v9, s[0:1]
	v_mul_f64 v[14:15], v[14:15], s[12:13]
	v_cmp_gt_i32_e64 s[0:1], 31, v11
	v_cndmask_b32_e64 v7, v2, v7, s[0:1]
	v_cmp_ne_u32_e64 s[0:1], 0, v0
	v_cndmask_b32_e64 v0, 0, 1, s[0:1]
	v_lshl_or_b32 v0, v0, 9, v2
	v_cmp_eq_u32_e64 s[0:1], s11, v11
	v_cndmask_b32_e64 v0, v7, v0, s[0:1]
	v_lshrrev_b32_e32 v7, 16, v10
	v_and_or_b32 v0, v7, s14, v0
	v_and_or_b32 v7, v15, s15, v14
	v_cmp_ne_u32_e64 s[0:1], 0, v7
	v_cndmask_b32_e64 v7, 0, 1, s[0:1]
	v_lshrrev_b32_e32 v9, 8, v15
	v_bfe_u32 v10, v15, 20, 11
	v_and_or_b32 v7, v9, s10, v7
	v_sub_u32_e32 v11, 0x3f1, v10
	v_or_b32_e32 v9, 0x1000, v7
	v_med3_i32 v11, v11, 0, 13
	v_lshrrev_b32_e32 v14, v11, v9
	v_lshlrev_b32_e32 v11, v11, v14
	v_cmp_ne_u32_e64 s[0:1], v11, v9
	v_cndmask_b32_e64 v9, 0, 1, s[0:1]
	v_add_u32_e32 v11, 0xfffffc10, v10
	v_or_b32_e32 v9, v14, v9
	v_lshl_or_b32 v10, v11, 12, v7
	v_cmp_gt_i32_e64 s[0:1], 1, v11
	v_cndmask_b32_e64 v9, v10, v9, s[0:1]
	v_and_b32_e32 v10, 7, v9
	v_cmp_lt_i32_e64 s[0:1], 5, v10
	v_cmp_eq_u32_e64 s[2:3], 3, v10
	v_lshrrev_b32_e32 v9, 2, v9
	s_or_b64 s[0:1], s[2:3], s[0:1]
	v_addc_co_u32_e64 v9, s[0:1], 0, v9, s[0:1]
	v_cmp_gt_i32_e64 s[0:1], 31, v11
	v_lshrrev_b32_e32 v16, 16, v8
	v_cndmask_b32_e64 v14, v2, v9, s[0:1]
	v_mul_f16_sdwa v9, v60, v16 dst_sel:DWORD dst_unused:UNUSED_PAD src0_sel:WORD_1 src1_sel:DWORD
	v_fma_f16 v9, v60, v8, v9
	v_cvt_f32_f16_e32 v9, v9
	v_cmp_ne_u32_e64 s[0:1], 0, v7
	v_cndmask_b32_e64 v7, 0, 1, s[0:1]
	v_lshl_or_b32 v7, v7, 9, v2
	v_cvt_f64_f32_e32 v[9:10], v9
	v_cmp_eq_u32_e64 s[0:1], s11, v11
	v_cndmask_b32_e64 v7, v14, v7, s[0:1]
	v_lshrrev_b32_e32 v11, 16, v15
	v_mul_f64 v[9:10], v[9:10], s[12:13]
	v_and_or_b32 v7, v11, s14, v7
	v_and_b32_e32 v0, 0xffff, v0
	v_add_co_u32_e64 v5, s[0:1], s6, v5
	v_lshl_or_b32 v0, v7, 16, v0
	v_addc_co_u32_e64 v6, s[0:1], v6, v1, s[0:1]
	global_store_dword v[5:6], v0, off
	v_and_or_b32 v0, v10, s15, v9
	v_cmp_ne_u32_e64 s[0:1], 0, v0
	v_cndmask_b32_e64 v0, 0, 1, s[0:1]
	v_lshrrev_b32_e32 v7, 8, v10
	v_bfe_u32 v9, v10, 20, 11
	v_and_or_b32 v0, v7, s10, v0
	v_sub_u32_e32 v11, 0x3f1, v9
	v_or_b32_e32 v7, 0x1000, v0
	v_med3_i32 v11, v11, 0, 13
	v_lshrrev_b32_e32 v14, v11, v7
	v_lshlrev_b32_e32 v11, v11, v14
	v_mul_f16_sdwa v8, v60, v8 dst_sel:DWORD dst_unused:UNUSED_PAD src0_sel:WORD_1 src1_sel:DWORD
	v_cmp_ne_u32_e64 s[0:1], v11, v7
	v_fma_f16 v8, v60, v16, -v8
	v_cndmask_b32_e64 v7, 0, 1, s[0:1]
	v_add_u32_e32 v9, 0xfffffc10, v9
	v_cvt_f32_f16_e32 v8, v8
	v_or_b32_e32 v7, v14, v7
	v_lshl_or_b32 v11, v9, 12, v0
	v_cmp_gt_i32_e64 s[0:1], 1, v9
	v_cndmask_b32_e64 v7, v11, v7, s[0:1]
	v_and_b32_e32 v11, 7, v7
	v_cmp_lt_i32_e64 s[0:1], 5, v11
	v_cmp_eq_u32_e64 s[2:3], 3, v11
	v_lshrrev_b32_e32 v11, 2, v7
	v_cvt_f64_f32_e32 v[7:8], v8
	s_or_b64 s[0:1], s[2:3], s[0:1]
	v_addc_co_u32_e64 v11, s[0:1], 0, v11, s[0:1]
	v_mul_f64 v[7:8], v[7:8], s[12:13]
	v_cmp_gt_i32_e64 s[0:1], 31, v9
	v_cndmask_b32_e64 v11, v2, v11, s[0:1]
	v_cmp_ne_u32_e64 s[0:1], 0, v0
	v_cndmask_b32_e64 v0, 0, 1, s[0:1]
	v_lshl_or_b32 v0, v0, 9, v2
	v_cmp_eq_u32_e64 s[0:1], s11, v9
	v_cndmask_b32_e64 v0, v11, v0, s[0:1]
	v_and_or_b32 v7, v8, s15, v7
	v_lshrrev_b32_e32 v9, 16, v10
	v_cmp_ne_u32_e64 s[0:1], 0, v7
	v_and_or_b32 v0, v9, s14, v0
	v_cndmask_b32_e64 v7, 0, 1, s[0:1]
	v_lshrrev_b32_e32 v9, 8, v8
	v_bfe_u32 v10, v8, 20, 11
	v_and_or_b32 v7, v9, s10, v7
	v_sub_u32_e32 v11, 0x3f1, v10
	v_or_b32_e32 v9, 0x1000, v7
	v_med3_i32 v11, v11, 0, 13
	v_lshrrev_b32_e32 v14, v11, v9
	v_lshlrev_b32_e32 v11, v11, v14
	v_cmp_ne_u32_e64 s[0:1], v11, v9
	v_cndmask_b32_e64 v9, 0, 1, s[0:1]
	v_add_u32_e32 v11, 0xfffffc10, v10
	v_or_b32_e32 v9, v14, v9
	v_lshl_or_b32 v10, v11, 12, v7
	v_cmp_gt_i32_e64 s[0:1], 1, v11
	v_cndmask_b32_e64 v9, v10, v9, s[0:1]
	ds_read_b32 v14, v57 offset:1008
	v_and_b32_e32 v10, 7, v9
	v_cmp_lt_i32_e64 s[0:1], 5, v10
	v_cmp_eq_u32_e64 s[2:3], 3, v10
	v_lshrrev_b32_e32 v9, 2, v9
	s_or_b64 s[0:1], s[2:3], s[0:1]
	v_addc_co_u32_e64 v9, s[0:1], 0, v9, s[0:1]
	v_cmp_gt_i32_e64 s[0:1], 31, v11
	s_waitcnt lgkmcnt(0)
	v_lshrrev_b32_e32 v16, 16, v14
	v_cndmask_b32_e64 v15, v2, v9, s[0:1]
	v_mul_f16_sdwa v9, v59, v16 dst_sel:DWORD dst_unused:UNUSED_PAD src0_sel:WORD_1 src1_sel:DWORD
	v_fma_f16 v9, v59, v14, v9
	v_cvt_f32_f16_e32 v9, v9
	v_cmp_ne_u32_e64 s[0:1], 0, v7
	v_cndmask_b32_e64 v7, 0, 1, s[0:1]
	v_lshl_or_b32 v7, v7, 9, v2
	v_cvt_f64_f32_e32 v[9:10], v9
	v_cmp_eq_u32_e64 s[0:1], s11, v11
	v_cndmask_b32_e64 v7, v15, v7, s[0:1]
	v_lshrrev_b32_e32 v8, 16, v8
	v_and_or_b32 v11, v8, s14, v7
	v_mul_f64 v[7:8], v[9:10], s[12:13]
	v_and_b32_e32 v0, 0xffff, v0
	v_add_co_u32_e64 v5, s[0:1], s6, v5
	v_lshl_or_b32 v0, v11, 16, v0
	v_addc_co_u32_e64 v6, s[0:1], v6, v1, s[0:1]
	global_store_dword v[5:6], v0, off
	v_and_or_b32 v0, v8, s15, v7
	v_cmp_ne_u32_e64 s[0:1], 0, v0
	v_cndmask_b32_e64 v0, 0, 1, s[0:1]
	v_lshrrev_b32_e32 v7, 8, v8
	v_bfe_u32 v9, v8, 20, 11
	v_and_or_b32 v0, v7, s10, v0
	v_sub_u32_e32 v10, 0x3f1, v9
	v_or_b32_e32 v7, 0x1000, v0
	v_med3_i32 v10, v10, 0, 13
	v_lshrrev_b32_e32 v11, v10, v7
	v_lshlrev_b32_e32 v10, v10, v11
	v_cmp_ne_u32_e64 s[0:1], v10, v7
	v_mul_f16_sdwa v10, v59, v14 dst_sel:DWORD dst_unused:UNUSED_PAD src0_sel:WORD_1 src1_sel:DWORD
	v_cndmask_b32_e64 v7, 0, 1, s[0:1]
	v_fma_f16 v10, v59, v16, -v10
	v_or_b32_e32 v7, v11, v7
	v_add_u32_e32 v11, 0xfffffc10, v9
	v_cvt_f32_f16_e32 v10, v10
	v_lshl_or_b32 v9, v11, 12, v0
	v_cmp_gt_i32_e64 s[0:1], 1, v11
	v_cndmask_b32_e64 v7, v9, v7, s[0:1]
	v_and_b32_e32 v9, 7, v7
	v_cmp_lt_i32_e64 s[0:1], 5, v9
	v_cmp_eq_u32_e64 s[2:3], 3, v9
	v_cvt_f64_f32_e32 v[9:10], v10
	v_lshrrev_b32_e32 v7, 2, v7
	s_or_b64 s[0:1], s[2:3], s[0:1]
	v_addc_co_u32_e64 v7, s[0:1], 0, v7, s[0:1]
	v_mul_f64 v[9:10], v[9:10], s[12:13]
	v_cmp_gt_i32_e64 s[0:1], 31, v11
	v_cndmask_b32_e64 v7, v2, v7, s[0:1]
	v_cmp_ne_u32_e64 s[0:1], 0, v0
	v_cndmask_b32_e64 v0, 0, 1, s[0:1]
	v_lshl_or_b32 v0, v0, 9, v2
	v_cmp_eq_u32_e64 s[0:1], s11, v11
	v_cndmask_b32_e64 v0, v7, v0, s[0:1]
	v_lshrrev_b32_e32 v7, 16, v8
	v_and_or_b32 v0, v7, s14, v0
	v_and_or_b32 v7, v10, s15, v9
	v_cmp_ne_u32_e64 s[0:1], 0, v7
	v_cndmask_b32_e64 v7, 0, 1, s[0:1]
	v_lshrrev_b32_e32 v8, 8, v10
	v_bfe_u32 v9, v10, 20, 11
	v_and_or_b32 v7, v8, s10, v7
	v_sub_u32_e32 v11, 0x3f1, v9
	v_or_b32_e32 v8, 0x1000, v7
	v_med3_i32 v11, v11, 0, 13
	v_lshrrev_b32_e32 v14, v11, v8
	v_lshlrev_b32_e32 v11, v11, v14
	v_cmp_ne_u32_e64 s[0:1], v11, v8
	v_cndmask_b32_e64 v8, 0, 1, s[0:1]
	v_add_u32_e32 v9, 0xfffffc10, v9
	v_or_b32_e32 v8, v14, v8
	v_lshl_or_b32 v11, v9, 12, v7
	v_cmp_gt_i32_e64 s[0:1], 1, v9
	v_cndmask_b32_e64 v8, v11, v8, s[0:1]
	v_and_b32_e32 v11, 7, v8
	v_cmp_lt_i32_e64 s[0:1], 5, v11
	v_cmp_eq_u32_e64 s[2:3], 3, v11
	v_lshrrev_b32_e32 v8, 2, v8
	s_or_b64 s[0:1], s[2:3], s[0:1]
	v_addc_co_u32_e64 v8, s[0:1], 0, v8, s[0:1]
	v_cmp_gt_i32_e64 s[0:1], 31, v9
	v_cndmask_b32_e64 v8, v2, v8, s[0:1]
	v_cmp_ne_u32_e64 s[0:1], 0, v7
	v_cndmask_b32_e64 v7, 0, 1, s[0:1]
	v_lshl_or_b32 v7, v7, 9, v2
	v_cmp_eq_u32_e64 s[0:1], s11, v9
	v_cndmask_b32_e64 v7, v8, v7, s[0:1]
	v_lshrrev_b32_e32 v8, 16, v10
	v_and_or_b32 v7, v8, s14, v7
	v_and_b32_e32 v0, 0xffff, v0
	v_lshl_or_b32 v7, v7, 16, v0
	v_add_co_u32_e64 v0, s[0:1], s6, v5
	v_addc_co_u32_e64 v1, s[0:1], v6, v1, s[0:1]
	global_store_dword v[0:1], v7, off
	s_and_b64 exec, exec, vcc
	s_cbranch_execz .LBB0_15
; %bb.14:
	global_load_dword v7, v[12:13], off offset:52
	ds_read2_b32 v[5:6], v57 offset0:13 offset1:34
	s_waitcnt lgkmcnt(0)
	v_lshrrev_b32_e32 v8, 16, v5
	s_waitcnt vmcnt(0)
	v_mul_f16_sdwa v9, v8, v7 dst_sel:DWORD dst_unused:UNUSED_PAD src0_sel:DWORD src1_sel:WORD_1
	v_fma_f16 v9, v5, v7, v9
	v_mul_f16_sdwa v5, v5, v7 dst_sel:DWORD dst_unused:UNUSED_PAD src0_sel:DWORD src1_sel:WORD_1
	v_cvt_f32_f16_e32 v9, v9
	v_fma_f16 v5, v7, v8, -v5
	v_cvt_f32_f16_e32 v5, v5
	v_cvt_f64_f32_e32 v[7:8], v9
	v_cvt_f64_f32_e32 v[9:10], v5
	v_mov_b32_e32 v5, 0xfffffc44
	v_mul_f64 v[7:8], v[7:8], s[12:13]
	v_mad_u64_u32 v[14:15], s[0:1], s8, v5, v[0:1]
	v_mul_f64 v[0:1], v[9:10], s[12:13]
	s_mul_i32 s0, s9, 0xfffffc44
	s_sub_i32 s0, s0, s8
	v_add_u32_e32 v15, s0, v15
	v_and_or_b32 v5, v8, s15, v7
	v_cmp_ne_u32_e32 vcc, 0, v5
	v_lshrrev_b32_e32 v7, 8, v8
	v_and_or_b32 v0, v1, s15, v0
	v_bfe_u32 v9, v8, 20, 11
	v_cndmask_b32_e64 v5, 0, 1, vcc
	v_cmp_ne_u32_e32 vcc, 0, v0
	v_lshrrev_b32_e32 v10, 8, v1
	v_bfe_u32 v11, v1, 20, 11
	v_sub_u32_e32 v16, 0x3f1, v9
	v_cndmask_b32_e64 v0, 0, 1, vcc
	v_and_or_b32 v5, v7, s10, v5
	v_sub_u32_e32 v17, 0x3f1, v11
	v_med3_i32 v7, v16, 0, 13
	v_and_or_b32 v0, v10, s10, v0
	v_or_b32_e32 v16, 0x1000, v5
	v_add_u32_e32 v9, 0xfffffc10, v9
	v_med3_i32 v10, v17, 0, 13
	v_cmp_ne_u32_e32 vcc, 0, v5
	v_or_b32_e32 v18, 0x1000, v0
	v_lshrrev_b32_e32 v20, v7, v16
	v_add_u32_e32 v11, 0xfffffc10, v11
	v_lshl_or_b32 v17, v9, 12, v5
	v_cndmask_b32_e64 v5, 0, 1, vcc
	v_cmp_ne_u32_e32 vcc, 0, v0
	v_lshrrev_b32_e32 v21, v10, v18
	v_lshlrev_b32_e32 v7, v7, v20
	v_lshl_or_b32 v19, v11, 12, v0
	v_cndmask_b32_e64 v0, 0, 1, vcc
	v_lshlrev_b32_e32 v10, v10, v21
	v_cmp_ne_u32_e32 vcc, v7, v16
	v_cndmask_b32_e64 v7, 0, 1, vcc
	v_cmp_ne_u32_e32 vcc, v10, v18
	v_cndmask_b32_e64 v10, 0, 1, vcc
	v_or_b32_e32 v7, v20, v7
	v_cmp_gt_i32_e32 vcc, 1, v9
	v_cndmask_b32_e32 v7, v17, v7, vcc
	v_or_b32_e32 v10, v21, v10
	v_cmp_gt_i32_e32 vcc, 1, v11
	v_and_b32_e32 v16, 7, v7
	v_cndmask_b32_e32 v10, v19, v10, vcc
	v_cmp_lt_i32_e32 vcc, 5, v16
	v_cmp_eq_u32_e64 s[0:1], 3, v16
	v_lshrrev_b32_e32 v7, 2, v7
	v_and_b32_e32 v17, 7, v10
	s_or_b64 vcc, s[0:1], vcc
	v_cmp_lt_i32_e64 s[2:3], 5, v17
	v_cmp_eq_u32_e64 s[4:5], 3, v17
	v_addc_co_u32_e32 v7, vcc, 0, v7, vcc
	v_lshrrev_b32_e32 v10, 2, v10
	s_or_b64 vcc, s[4:5], s[2:3]
	v_addc_co_u32_e32 v10, vcc, 0, v10, vcc
	v_cmp_gt_i32_e32 vcc, 31, v9
	v_cndmask_b32_e32 v7, v2, v7, vcc
	v_cmp_gt_i32_e32 vcc, 31, v11
	v_lshl_or_b32 v5, v5, 9, v2
	v_cndmask_b32_e32 v10, v2, v10, vcc
	v_cmp_eq_u32_e32 vcc, s11, v9
	v_lshrrev_b32_e32 v8, 16, v8
	v_lshl_or_b32 v0, v0, 9, v2
	v_cndmask_b32_e32 v5, v7, v5, vcc
	v_cmp_eq_u32_e32 vcc, s11, v11
	v_lshrrev_b32_e32 v1, 16, v1
	v_cndmask_b32_e32 v0, v10, v0, vcc
	v_and_or_b32 v5, v8, s14, v5
	v_and_or_b32 v0, v1, s14, v0
	v_and_b32_e32 v1, 0xffff, v5
	v_lshl_or_b32 v0, v0, 16, v1
	global_store_dword v[14:15], v0, off
	global_load_dword v0, v[12:13], off offset:136
	v_lshrrev_b32_e32 v1, 16, v6
	v_add_co_u32_e32 v9, vcc, s6, v14
	s_waitcnt vmcnt(0)
	v_mul_f16_sdwa v5, v1, v0 dst_sel:DWORD dst_unused:UNUSED_PAD src0_sel:DWORD src1_sel:WORD_1
	v_fma_f16 v5, v6, v0, v5
	v_mul_f16_sdwa v6, v6, v0 dst_sel:DWORD dst_unused:UNUSED_PAD src0_sel:DWORD src1_sel:WORD_1
	v_cvt_f32_f16_e32 v5, v5
	v_fma_f16 v0, v0, v1, -v6
	v_cvt_f32_f16_e32 v6, v0
	v_cvt_f64_f32_e32 v[0:1], v5
	v_cvt_f64_f32_e32 v[5:6], v6
	v_mul_f64 v[7:8], v[0:1], s[12:13]
	v_mov_b32_e32 v0, s7
	v_mul_f64 v[5:6], v[5:6], s[12:13]
	v_addc_co_u32_e32 v10, vcc, v15, v0, vcc
	v_and_or_b32 v1, v8, s15, v7
	v_cmp_ne_u32_e32 vcc, 0, v1
	v_and_or_b32 v5, v6, s15, v5
	v_lshrrev_b32_e32 v7, 8, v8
	v_bfe_u32 v11, v8, 20, 11
	v_cndmask_b32_e64 v1, 0, 1, vcc
	v_cmp_ne_u32_e32 vcc, 0, v5
	v_lshrrev_b32_e32 v14, 8, v6
	v_bfe_u32 v15, v6, 20, 11
	v_sub_u32_e32 v16, 0x3f1, v11
	v_cndmask_b32_e64 v5, 0, 1, vcc
	v_and_or_b32 v1, v7, s10, v1
	v_sub_u32_e32 v17, 0x3f1, v15
	v_med3_i32 v7, v16, 0, 13
	v_and_or_b32 v5, v14, s10, v5
	v_or_b32_e32 v16, 0x1000, v1
	v_add_u32_e32 v11, 0xfffffc10, v11
	v_med3_i32 v14, v17, 0, 13
	v_cmp_ne_u32_e32 vcc, 0, v1
	v_or_b32_e32 v18, 0x1000, v5
	v_lshrrev_b32_e32 v20, v7, v16
	v_add_u32_e32 v15, 0xfffffc10, v15
	v_lshl_or_b32 v17, v11, 12, v1
	v_cndmask_b32_e64 v1, 0, 1, vcc
	v_cmp_ne_u32_e32 vcc, 0, v5
	v_lshrrev_b32_e32 v21, v14, v18
	v_lshlrev_b32_e32 v7, v7, v20
	v_lshl_or_b32 v19, v15, 12, v5
	v_cndmask_b32_e64 v5, 0, 1, vcc
	v_lshlrev_b32_e32 v14, v14, v21
	v_cmp_ne_u32_e32 vcc, v7, v16
	v_cndmask_b32_e64 v7, 0, 1, vcc
	v_cmp_ne_u32_e32 vcc, v14, v18
	v_cndmask_b32_e64 v14, 0, 1, vcc
	v_or_b32_e32 v7, v20, v7
	v_cmp_gt_i32_e32 vcc, 1, v11
	v_cndmask_b32_e32 v7, v17, v7, vcc
	v_or_b32_e32 v14, v21, v14
	v_cmp_gt_i32_e32 vcc, 1, v15
	v_and_b32_e32 v16, 7, v7
	v_cndmask_b32_e32 v14, v19, v14, vcc
	v_cmp_lt_i32_e32 vcc, 5, v16
	v_cmp_eq_u32_e64 s[0:1], 3, v16
	v_lshrrev_b32_e32 v7, 2, v7
	v_and_b32_e32 v17, 7, v14
	s_or_b64 vcc, s[0:1], vcc
	v_cmp_lt_i32_e64 s[2:3], 5, v17
	v_cmp_eq_u32_e64 s[4:5], 3, v17
	v_addc_co_u32_e32 v7, vcc, 0, v7, vcc
	v_lshrrev_b32_e32 v14, 2, v14
	s_or_b64 vcc, s[4:5], s[2:3]
	v_addc_co_u32_e32 v14, vcc, 0, v14, vcc
	v_cmp_gt_i32_e32 vcc, 31, v11
	v_cndmask_b32_e32 v7, v2, v7, vcc
	v_cmp_gt_i32_e32 vcc, 31, v15
	v_lshl_or_b32 v1, v1, 9, v2
	v_cndmask_b32_e32 v14, v2, v14, vcc
	v_cmp_eq_u32_e32 vcc, s11, v11
	v_lshrrev_b32_e32 v8, 16, v8
	v_lshl_or_b32 v5, v5, 9, v2
	v_cndmask_b32_e32 v1, v7, v1, vcc
	v_cmp_eq_u32_e32 vcc, s11, v15
	v_lshrrev_b32_e32 v6, 16, v6
	v_cndmask_b32_e32 v5, v14, v5, vcc
	v_and_or_b32 v1, v8, s14, v1
	v_and_or_b32 v5, v6, s14, v5
	v_and_b32_e32 v1, 0xffff, v1
	v_lshl_or_b32 v1, v5, 16, v1
	global_store_dword v[9:10], v1, off
	global_load_dword v1, v[12:13], off offset:220
	ds_read2_b32 v[5:6], v57 offset0:55 offset1:76
	v_add_co_u32_e32 v9, vcc, s6, v9
	v_addc_co_u32_e32 v10, vcc, v10, v0, vcc
	s_waitcnt lgkmcnt(0)
	v_lshrrev_b32_e32 v7, 16, v5
	s_waitcnt vmcnt(0)
	v_mul_f16_sdwa v8, v7, v1 dst_sel:DWORD dst_unused:UNUSED_PAD src0_sel:DWORD src1_sel:WORD_1
	v_fma_f16 v8, v5, v1, v8
	v_mul_f16_sdwa v5, v5, v1 dst_sel:DWORD dst_unused:UNUSED_PAD src0_sel:DWORD src1_sel:WORD_1
	v_cvt_f32_f16_e32 v8, v8
	v_fma_f16 v1, v1, v7, -v5
	v_cvt_f32_f16_e32 v1, v1
	v_cvt_f64_f32_e32 v[7:8], v8
	v_cvt_f64_f32_e32 v[14:15], v1
	v_mul_f64 v[7:8], v[7:8], s[12:13]
	v_mul_f64 v[14:15], v[14:15], s[12:13]
	v_and_or_b32 v1, v8, s15, v7
	v_cmp_ne_u32_e32 vcc, 0, v1
	v_and_or_b32 v11, v15, s15, v14
	v_lshrrev_b32_e32 v5, 8, v8
	v_bfe_u32 v7, v8, 20, 11
	v_cndmask_b32_e64 v1, 0, 1, vcc
	v_cmp_ne_u32_e32 vcc, 0, v11
	v_lshrrev_b32_e32 v14, 8, v15
	v_bfe_u32 v16, v15, 20, 11
	v_sub_u32_e32 v17, 0x3f1, v7
	v_cndmask_b32_e64 v11, 0, 1, vcc
	v_and_or_b32 v1, v5, s10, v1
	v_sub_u32_e32 v18, 0x3f1, v16
	v_med3_i32 v5, v17, 0, 13
	v_and_or_b32 v11, v14, s10, v11
	v_or_b32_e32 v17, 0x1000, v1
	v_add_u32_e32 v7, 0xfffffc10, v7
	v_med3_i32 v14, v18, 0, 13
	v_cmp_ne_u32_e32 vcc, 0, v1
	v_or_b32_e32 v19, 0x1000, v11
	v_lshrrev_b32_e32 v21, v5, v17
	v_add_u32_e32 v16, 0xfffffc10, v16
	v_lshl_or_b32 v18, v7, 12, v1
	v_cndmask_b32_e64 v1, 0, 1, vcc
	v_cmp_ne_u32_e32 vcc, 0, v11
	v_lshrrev_b32_e32 v22, v14, v19
	v_lshlrev_b32_e32 v5, v5, v21
	v_lshl_or_b32 v20, v16, 12, v11
	v_cndmask_b32_e64 v11, 0, 1, vcc
	v_lshlrev_b32_e32 v14, v14, v22
	v_cmp_ne_u32_e32 vcc, v5, v17
	v_cndmask_b32_e64 v5, 0, 1, vcc
	v_cmp_ne_u32_e32 vcc, v14, v19
	v_cndmask_b32_e64 v14, 0, 1, vcc
	v_or_b32_e32 v5, v21, v5
	v_cmp_gt_i32_e32 vcc, 1, v7
	v_cndmask_b32_e32 v5, v18, v5, vcc
	v_or_b32_e32 v14, v22, v14
	v_cmp_gt_i32_e32 vcc, 1, v16
	v_and_b32_e32 v17, 7, v5
	v_cndmask_b32_e32 v14, v20, v14, vcc
	v_cmp_lt_i32_e32 vcc, 5, v17
	v_cmp_eq_u32_e64 s[0:1], 3, v17
	v_lshrrev_b32_e32 v5, 2, v5
	v_and_b32_e32 v18, 7, v14
	s_or_b64 vcc, s[0:1], vcc
	v_cmp_lt_i32_e64 s[2:3], 5, v18
	v_cmp_eq_u32_e64 s[4:5], 3, v18
	v_addc_co_u32_e32 v5, vcc, 0, v5, vcc
	v_lshrrev_b32_e32 v14, 2, v14
	s_or_b64 vcc, s[4:5], s[2:3]
	v_addc_co_u32_e32 v14, vcc, 0, v14, vcc
	v_cmp_gt_i32_e32 vcc, 31, v7
	v_cndmask_b32_e32 v5, v2, v5, vcc
	v_cmp_gt_i32_e32 vcc, 31, v16
	v_lshl_or_b32 v1, v1, 9, v2
	v_cndmask_b32_e32 v14, v2, v14, vcc
	v_cmp_eq_u32_e32 vcc, s11, v7
	v_lshrrev_b32_e32 v8, 16, v8
	v_lshl_or_b32 v11, v11, 9, v2
	v_cndmask_b32_e32 v1, v5, v1, vcc
	v_cmp_eq_u32_e32 vcc, s11, v16
	v_lshrrev_b32_e32 v15, 16, v15
	v_cndmask_b32_e32 v5, v14, v11, vcc
	v_and_or_b32 v1, v8, s14, v1
	v_and_or_b32 v5, v15, s14, v5
	v_and_b32_e32 v1, 0xffff, v1
	v_lshl_or_b32 v1, v5, 16, v1
	global_store_dword v[9:10], v1, off
	global_load_dword v1, v[12:13], off offset:304
	v_lshrrev_b32_e32 v5, 16, v6
	v_add_co_u32_e32 v9, vcc, s6, v9
	v_addc_co_u32_e32 v10, vcc, v10, v0, vcc
	s_waitcnt vmcnt(0)
	v_mul_f16_sdwa v7, v5, v1 dst_sel:DWORD dst_unused:UNUSED_PAD src0_sel:DWORD src1_sel:WORD_1
	v_fma_f16 v7, v6, v1, v7
	v_mul_f16_sdwa v6, v6, v1 dst_sel:DWORD dst_unused:UNUSED_PAD src0_sel:DWORD src1_sel:WORD_1
	v_cvt_f32_f16_e32 v7, v7
	v_fma_f16 v1, v1, v5, -v6
	v_cvt_f32_f16_e32 v1, v1
	v_cvt_f64_f32_e32 v[5:6], v7
	v_cvt_f64_f32_e32 v[7:8], v1
	v_mul_f64 v[5:6], v[5:6], s[12:13]
	v_mul_f64 v[7:8], v[7:8], s[12:13]
	v_and_or_b32 v1, v6, s15, v5
	v_cmp_ne_u32_e32 vcc, 0, v1
	v_and_or_b32 v7, v8, s15, v7
	v_lshrrev_b32_e32 v5, 8, v6
	v_bfe_u32 v11, v6, 20, 11
	v_cndmask_b32_e64 v1, 0, 1, vcc
	v_cmp_ne_u32_e32 vcc, 0, v7
	v_lshrrev_b32_e32 v14, 8, v8
	v_bfe_u32 v15, v8, 20, 11
	v_sub_u32_e32 v16, 0x3f1, v11
	v_cndmask_b32_e64 v7, 0, 1, vcc
	v_and_or_b32 v1, v5, s10, v1
	v_sub_u32_e32 v17, 0x3f1, v15
	v_med3_i32 v5, v16, 0, 13
	v_and_or_b32 v7, v14, s10, v7
	v_or_b32_e32 v16, 0x1000, v1
	v_add_u32_e32 v11, 0xfffffc10, v11
	v_med3_i32 v14, v17, 0, 13
	v_cmp_ne_u32_e32 vcc, 0, v1
	v_or_b32_e32 v18, 0x1000, v7
	v_lshrrev_b32_e32 v20, v5, v16
	v_add_u32_e32 v15, 0xfffffc10, v15
	v_lshl_or_b32 v17, v11, 12, v1
	v_cndmask_b32_e64 v1, 0, 1, vcc
	v_cmp_ne_u32_e32 vcc, 0, v7
	v_lshrrev_b32_e32 v21, v14, v18
	v_lshlrev_b32_e32 v5, v5, v20
	v_lshl_or_b32 v19, v15, 12, v7
	v_cndmask_b32_e64 v7, 0, 1, vcc
	v_lshlrev_b32_e32 v14, v14, v21
	v_cmp_ne_u32_e32 vcc, v5, v16
	v_cndmask_b32_e64 v5, 0, 1, vcc
	v_cmp_ne_u32_e32 vcc, v14, v18
	v_cndmask_b32_e64 v14, 0, 1, vcc
	v_or_b32_e32 v5, v20, v5
	v_cmp_gt_i32_e32 vcc, 1, v11
	v_cndmask_b32_e32 v5, v17, v5, vcc
	v_or_b32_e32 v14, v21, v14
	v_cmp_gt_i32_e32 vcc, 1, v15
	v_and_b32_e32 v16, 7, v5
	v_cndmask_b32_e32 v14, v19, v14, vcc
	v_cmp_lt_i32_e32 vcc, 5, v16
	v_cmp_eq_u32_e64 s[0:1], 3, v16
	v_lshrrev_b32_e32 v5, 2, v5
	v_and_b32_e32 v17, 7, v14
	s_or_b64 vcc, s[0:1], vcc
	v_cmp_lt_i32_e64 s[2:3], 5, v17
	v_cmp_eq_u32_e64 s[4:5], 3, v17
	v_addc_co_u32_e32 v5, vcc, 0, v5, vcc
	v_lshrrev_b32_e32 v14, 2, v14
	s_or_b64 vcc, s[4:5], s[2:3]
	v_addc_co_u32_e32 v14, vcc, 0, v14, vcc
	v_cmp_gt_i32_e32 vcc, 31, v11
	v_cndmask_b32_e32 v5, v2, v5, vcc
	v_cmp_gt_i32_e32 vcc, 31, v15
	v_lshl_or_b32 v1, v1, 9, v2
	v_cndmask_b32_e32 v14, v2, v14, vcc
	v_cmp_eq_u32_e32 vcc, s11, v11
	v_lshrrev_b32_e32 v6, 16, v6
	v_lshl_or_b32 v7, v7, 9, v2
	v_cndmask_b32_e32 v1, v5, v1, vcc
	v_cmp_eq_u32_e32 vcc, s11, v15
	v_lshrrev_b32_e32 v8, 16, v8
	v_cndmask_b32_e32 v5, v14, v7, vcc
	v_and_or_b32 v1, v6, s14, v1
	v_and_or_b32 v5, v8, s14, v5
	v_and_b32_e32 v1, 0xffff, v1
	v_lshl_or_b32 v1, v5, 16, v1
	global_store_dword v[9:10], v1, off
	global_load_dword v1, v[12:13], off offset:388
	ds_read2_b32 v[5:6], v57 offset0:97 offset1:118
	v_add_co_u32_e32 v9, vcc, s6, v9
	v_addc_co_u32_e32 v10, vcc, v10, v0, vcc
	s_waitcnt lgkmcnt(0)
	v_lshrrev_b32_e32 v7, 16, v5
	s_waitcnt vmcnt(0)
	v_mul_f16_sdwa v8, v7, v1 dst_sel:DWORD dst_unused:UNUSED_PAD src0_sel:DWORD src1_sel:WORD_1
	v_fma_f16 v8, v5, v1, v8
	v_mul_f16_sdwa v5, v5, v1 dst_sel:DWORD dst_unused:UNUSED_PAD src0_sel:DWORD src1_sel:WORD_1
	v_cvt_f32_f16_e32 v8, v8
	v_fma_f16 v1, v1, v7, -v5
	v_cvt_f32_f16_e32 v1, v1
	v_cvt_f64_f32_e32 v[7:8], v8
	v_cvt_f64_f32_e32 v[14:15], v1
	v_mul_f64 v[7:8], v[7:8], s[12:13]
	v_mul_f64 v[14:15], v[14:15], s[12:13]
	v_and_or_b32 v1, v8, s15, v7
	v_cmp_ne_u32_e32 vcc, 0, v1
	v_and_or_b32 v11, v15, s15, v14
	v_lshrrev_b32_e32 v5, 8, v8
	v_bfe_u32 v7, v8, 20, 11
	v_cndmask_b32_e64 v1, 0, 1, vcc
	v_cmp_ne_u32_e32 vcc, 0, v11
	v_lshrrev_b32_e32 v14, 8, v15
	v_bfe_u32 v16, v15, 20, 11
	v_sub_u32_e32 v17, 0x3f1, v7
	v_cndmask_b32_e64 v11, 0, 1, vcc
	v_and_or_b32 v1, v5, s10, v1
	v_sub_u32_e32 v18, 0x3f1, v16
	v_med3_i32 v5, v17, 0, 13
	v_and_or_b32 v11, v14, s10, v11
	v_or_b32_e32 v17, 0x1000, v1
	v_add_u32_e32 v7, 0xfffffc10, v7
	v_med3_i32 v14, v18, 0, 13
	v_cmp_ne_u32_e32 vcc, 0, v1
	v_or_b32_e32 v19, 0x1000, v11
	v_lshrrev_b32_e32 v21, v5, v17
	v_add_u32_e32 v16, 0xfffffc10, v16
	v_lshl_or_b32 v18, v7, 12, v1
	v_cndmask_b32_e64 v1, 0, 1, vcc
	v_cmp_ne_u32_e32 vcc, 0, v11
	v_lshrrev_b32_e32 v22, v14, v19
	v_lshlrev_b32_e32 v5, v5, v21
	v_lshl_or_b32 v20, v16, 12, v11
	v_cndmask_b32_e64 v11, 0, 1, vcc
	v_lshlrev_b32_e32 v14, v14, v22
	v_cmp_ne_u32_e32 vcc, v5, v17
	v_cndmask_b32_e64 v5, 0, 1, vcc
	v_cmp_ne_u32_e32 vcc, v14, v19
	v_cndmask_b32_e64 v14, 0, 1, vcc
	v_or_b32_e32 v5, v21, v5
	v_cmp_gt_i32_e32 vcc, 1, v7
	v_cndmask_b32_e32 v5, v18, v5, vcc
	v_or_b32_e32 v14, v22, v14
	v_cmp_gt_i32_e32 vcc, 1, v16
	v_and_b32_e32 v17, 7, v5
	v_cndmask_b32_e32 v14, v20, v14, vcc
	v_cmp_lt_i32_e32 vcc, 5, v17
	v_cmp_eq_u32_e64 s[0:1], 3, v17
	v_lshrrev_b32_e32 v5, 2, v5
	v_and_b32_e32 v18, 7, v14
	s_or_b64 vcc, s[0:1], vcc
	v_cmp_lt_i32_e64 s[2:3], 5, v18
	v_cmp_eq_u32_e64 s[4:5], 3, v18
	v_addc_co_u32_e32 v5, vcc, 0, v5, vcc
	v_lshrrev_b32_e32 v14, 2, v14
	s_or_b64 vcc, s[4:5], s[2:3]
	v_addc_co_u32_e32 v14, vcc, 0, v14, vcc
	v_cmp_gt_i32_e32 vcc, 31, v7
	v_cndmask_b32_e32 v5, v2, v5, vcc
	v_cmp_gt_i32_e32 vcc, 31, v16
	v_lshl_or_b32 v1, v1, 9, v2
	v_cndmask_b32_e32 v14, v2, v14, vcc
	v_cmp_eq_u32_e32 vcc, s11, v7
	v_lshrrev_b32_e32 v8, 16, v8
	v_lshl_or_b32 v11, v11, 9, v2
	v_cndmask_b32_e32 v1, v5, v1, vcc
	v_cmp_eq_u32_e32 vcc, s11, v16
	v_lshrrev_b32_e32 v15, 16, v15
	v_cndmask_b32_e32 v5, v14, v11, vcc
	v_and_or_b32 v1, v8, s14, v1
	v_and_or_b32 v5, v15, s14, v5
	v_and_b32_e32 v1, 0xffff, v1
	v_lshl_or_b32 v1, v5, 16, v1
	global_store_dword v[9:10], v1, off
	global_load_dword v1, v[12:13], off offset:472
	v_lshrrev_b32_e32 v5, 16, v6
	v_add_co_u32_e32 v9, vcc, s6, v9
	v_addc_co_u32_e32 v10, vcc, v10, v0, vcc
	s_waitcnt vmcnt(0)
	v_mul_f16_sdwa v7, v5, v1 dst_sel:DWORD dst_unused:UNUSED_PAD src0_sel:DWORD src1_sel:WORD_1
	v_fma_f16 v7, v6, v1, v7
	v_mul_f16_sdwa v6, v6, v1 dst_sel:DWORD dst_unused:UNUSED_PAD src0_sel:DWORD src1_sel:WORD_1
	v_cvt_f32_f16_e32 v7, v7
	v_fma_f16 v1, v1, v5, -v6
	v_cvt_f32_f16_e32 v1, v1
	v_cvt_f64_f32_e32 v[5:6], v7
	v_cvt_f64_f32_e32 v[7:8], v1
	v_mul_f64 v[5:6], v[5:6], s[12:13]
	v_mul_f64 v[7:8], v[7:8], s[12:13]
	v_and_or_b32 v1, v6, s15, v5
	v_cmp_ne_u32_e32 vcc, 0, v1
	v_and_or_b32 v7, v8, s15, v7
	v_lshrrev_b32_e32 v5, 8, v6
	v_bfe_u32 v11, v6, 20, 11
	v_cndmask_b32_e64 v1, 0, 1, vcc
	v_cmp_ne_u32_e32 vcc, 0, v7
	v_lshrrev_b32_e32 v14, 8, v8
	v_bfe_u32 v15, v8, 20, 11
	v_sub_u32_e32 v16, 0x3f1, v11
	v_cndmask_b32_e64 v7, 0, 1, vcc
	v_and_or_b32 v1, v5, s10, v1
	v_sub_u32_e32 v17, 0x3f1, v15
	v_med3_i32 v5, v16, 0, 13
	v_and_or_b32 v7, v14, s10, v7
	v_or_b32_e32 v16, 0x1000, v1
	v_add_u32_e32 v11, 0xfffffc10, v11
	v_med3_i32 v14, v17, 0, 13
	v_cmp_ne_u32_e32 vcc, 0, v1
	v_or_b32_e32 v18, 0x1000, v7
	v_lshrrev_b32_e32 v20, v5, v16
	v_add_u32_e32 v15, 0xfffffc10, v15
	v_lshl_or_b32 v17, v11, 12, v1
	v_cndmask_b32_e64 v1, 0, 1, vcc
	v_cmp_ne_u32_e32 vcc, 0, v7
	v_lshrrev_b32_e32 v21, v14, v18
	v_lshlrev_b32_e32 v5, v5, v20
	v_lshl_or_b32 v19, v15, 12, v7
	v_cndmask_b32_e64 v7, 0, 1, vcc
	v_lshlrev_b32_e32 v14, v14, v21
	v_cmp_ne_u32_e32 vcc, v5, v16
	v_cndmask_b32_e64 v5, 0, 1, vcc
	v_cmp_ne_u32_e32 vcc, v14, v18
	v_cndmask_b32_e64 v14, 0, 1, vcc
	v_or_b32_e32 v5, v20, v5
	v_cmp_gt_i32_e32 vcc, 1, v11
	v_cndmask_b32_e32 v5, v17, v5, vcc
	v_or_b32_e32 v14, v21, v14
	v_cmp_gt_i32_e32 vcc, 1, v15
	v_and_b32_e32 v16, 7, v5
	v_cndmask_b32_e32 v14, v19, v14, vcc
	v_cmp_lt_i32_e32 vcc, 5, v16
	v_cmp_eq_u32_e64 s[0:1], 3, v16
	v_lshrrev_b32_e32 v5, 2, v5
	v_and_b32_e32 v17, 7, v14
	s_or_b64 vcc, s[0:1], vcc
	v_cmp_lt_i32_e64 s[2:3], 5, v17
	v_cmp_eq_u32_e64 s[4:5], 3, v17
	v_addc_co_u32_e32 v5, vcc, 0, v5, vcc
	v_lshrrev_b32_e32 v14, 2, v14
	s_or_b64 vcc, s[4:5], s[2:3]
	v_addc_co_u32_e32 v14, vcc, 0, v14, vcc
	v_cmp_gt_i32_e32 vcc, 31, v11
	v_cndmask_b32_e32 v5, v2, v5, vcc
	v_cmp_gt_i32_e32 vcc, 31, v15
	v_lshl_or_b32 v1, v1, 9, v2
	v_cndmask_b32_e32 v14, v2, v14, vcc
	v_cmp_eq_u32_e32 vcc, s11, v11
	v_lshrrev_b32_e32 v6, 16, v6
	v_lshl_or_b32 v7, v7, 9, v2
	v_cndmask_b32_e32 v1, v5, v1, vcc
	v_cmp_eq_u32_e32 vcc, s11, v15
	v_lshrrev_b32_e32 v8, 16, v8
	v_cndmask_b32_e32 v5, v14, v7, vcc
	v_and_or_b32 v1, v6, s14, v1
	v_and_or_b32 v5, v8, s14, v5
	v_and_b32_e32 v1, 0xffff, v1
	v_lshl_or_b32 v1, v5, 16, v1
	global_store_dword v[9:10], v1, off
	global_load_dword v1, v[12:13], off offset:556
	ds_read2_b32 v[5:6], v57 offset0:139 offset1:160
	v_add_co_u32_e32 v9, vcc, s6, v9
	v_addc_co_u32_e32 v10, vcc, v10, v0, vcc
	s_waitcnt lgkmcnt(0)
	v_lshrrev_b32_e32 v7, 16, v5
	s_waitcnt vmcnt(0)
	v_mul_f16_sdwa v8, v7, v1 dst_sel:DWORD dst_unused:UNUSED_PAD src0_sel:DWORD src1_sel:WORD_1
	v_fma_f16 v8, v5, v1, v8
	v_mul_f16_sdwa v5, v5, v1 dst_sel:DWORD dst_unused:UNUSED_PAD src0_sel:DWORD src1_sel:WORD_1
	v_cvt_f32_f16_e32 v8, v8
	v_fma_f16 v1, v1, v7, -v5
	v_cvt_f32_f16_e32 v1, v1
	v_cvt_f64_f32_e32 v[7:8], v8
	v_cvt_f64_f32_e32 v[14:15], v1
	v_mul_f64 v[7:8], v[7:8], s[12:13]
	v_mul_f64 v[14:15], v[14:15], s[12:13]
	v_and_or_b32 v1, v8, s15, v7
	v_cmp_ne_u32_e32 vcc, 0, v1
	v_and_or_b32 v11, v15, s15, v14
	v_lshrrev_b32_e32 v5, 8, v8
	v_bfe_u32 v7, v8, 20, 11
	v_cndmask_b32_e64 v1, 0, 1, vcc
	v_cmp_ne_u32_e32 vcc, 0, v11
	v_lshrrev_b32_e32 v14, 8, v15
	v_bfe_u32 v16, v15, 20, 11
	v_sub_u32_e32 v17, 0x3f1, v7
	v_cndmask_b32_e64 v11, 0, 1, vcc
	v_and_or_b32 v1, v5, s10, v1
	v_sub_u32_e32 v18, 0x3f1, v16
	v_med3_i32 v5, v17, 0, 13
	v_and_or_b32 v11, v14, s10, v11
	v_or_b32_e32 v17, 0x1000, v1
	v_add_u32_e32 v7, 0xfffffc10, v7
	v_med3_i32 v14, v18, 0, 13
	v_cmp_ne_u32_e32 vcc, 0, v1
	v_or_b32_e32 v19, 0x1000, v11
	v_lshrrev_b32_e32 v21, v5, v17
	v_add_u32_e32 v16, 0xfffffc10, v16
	v_lshl_or_b32 v18, v7, 12, v1
	v_cndmask_b32_e64 v1, 0, 1, vcc
	v_cmp_ne_u32_e32 vcc, 0, v11
	v_lshrrev_b32_e32 v22, v14, v19
	v_lshlrev_b32_e32 v5, v5, v21
	v_lshl_or_b32 v20, v16, 12, v11
	v_cndmask_b32_e64 v11, 0, 1, vcc
	v_lshlrev_b32_e32 v14, v14, v22
	v_cmp_ne_u32_e32 vcc, v5, v17
	v_cndmask_b32_e64 v5, 0, 1, vcc
	v_cmp_ne_u32_e32 vcc, v14, v19
	v_cndmask_b32_e64 v14, 0, 1, vcc
	v_or_b32_e32 v5, v21, v5
	v_cmp_gt_i32_e32 vcc, 1, v7
	v_cndmask_b32_e32 v5, v18, v5, vcc
	v_or_b32_e32 v14, v22, v14
	v_cmp_gt_i32_e32 vcc, 1, v16
	v_and_b32_e32 v17, 7, v5
	v_cndmask_b32_e32 v14, v20, v14, vcc
	v_cmp_lt_i32_e32 vcc, 5, v17
	v_cmp_eq_u32_e64 s[0:1], 3, v17
	v_lshrrev_b32_e32 v5, 2, v5
	v_and_b32_e32 v18, 7, v14
	s_or_b64 vcc, s[0:1], vcc
	v_cmp_lt_i32_e64 s[2:3], 5, v18
	v_cmp_eq_u32_e64 s[4:5], 3, v18
	v_addc_co_u32_e32 v5, vcc, 0, v5, vcc
	v_lshrrev_b32_e32 v14, 2, v14
	s_or_b64 vcc, s[4:5], s[2:3]
	v_addc_co_u32_e32 v14, vcc, 0, v14, vcc
	v_cmp_gt_i32_e32 vcc, 31, v7
	v_cndmask_b32_e32 v5, v2, v5, vcc
	v_cmp_gt_i32_e32 vcc, 31, v16
	v_lshl_or_b32 v1, v1, 9, v2
	v_cndmask_b32_e32 v14, v2, v14, vcc
	v_cmp_eq_u32_e32 vcc, s11, v7
	v_lshrrev_b32_e32 v8, 16, v8
	v_lshl_or_b32 v11, v11, 9, v2
	v_cndmask_b32_e32 v1, v5, v1, vcc
	v_cmp_eq_u32_e32 vcc, s11, v16
	v_lshrrev_b32_e32 v15, 16, v15
	v_cndmask_b32_e32 v5, v14, v11, vcc
	v_and_or_b32 v1, v8, s14, v1
	v_and_or_b32 v5, v15, s14, v5
	v_and_b32_e32 v1, 0xffff, v1
	v_lshl_or_b32 v1, v5, 16, v1
	global_store_dword v[9:10], v1, off
	global_load_dword v5, v[12:13], off offset:640
	v_or_b32_e32 v11, 0xa0, v58
	v_mad_u64_u32 v[7:8], s[0:1], s8, v11, 0
	v_lshrrev_b32_e32 v14, 16, v6
	v_mov_b32_e32 v1, v8
	s_waitcnt vmcnt(0)
	v_mul_f16_sdwa v8, v14, v5 dst_sel:DWORD dst_unused:UNUSED_PAD src0_sel:DWORD src1_sel:WORD_1
	v_fma_f16 v8, v6, v5, v8
	v_mul_f16_sdwa v6, v6, v5 dst_sel:DWORD dst_unused:UNUSED_PAD src0_sel:DWORD src1_sel:WORD_1
	v_cvt_f32_f16_e32 v8, v8
	v_fma_f16 v5, v5, v14, -v6
	v_cvt_f32_f16_e32 v16, v5
	v_mad_u64_u32 v[14:15], s[0:1], s9, v11, v[1:2]
	v_cvt_f64_f32_e32 v[5:6], v8
	v_cvt_f64_f32_e32 v[15:16], v16
	v_mov_b32_e32 v8, v14
	v_lshlrev_b64 v[7:8], 2, v[7:8]
	v_mul_f64 v[5:6], v[5:6], s[12:13]
	v_mul_f64 v[14:15], v[15:16], s[12:13]
	v_add_co_u32_e32 v3, vcc, v3, v7
	v_addc_co_u32_e32 v4, vcc, v4, v8, vcc
	v_and_or_b32 v1, v6, s15, v5
	v_and_or_b32 v8, v15, s15, v14
	v_cmp_ne_u32_e32 vcc, 0, v1
	v_lshrrev_b32_e32 v5, 8, v6
	v_bfe_u32 v7, v6, 20, 11
	v_cndmask_b32_e64 v1, 0, 1, vcc
	v_cmp_ne_u32_e32 vcc, 0, v8
	v_lshrrev_b32_e32 v11, 8, v15
	v_bfe_u32 v14, v15, 20, 11
	v_sub_u32_e32 v16, 0x3f1, v7
	v_cndmask_b32_e64 v8, 0, 1, vcc
	v_and_or_b32 v1, v5, s10, v1
	v_sub_u32_e32 v17, 0x3f1, v14
	v_med3_i32 v5, v16, 0, 13
	v_and_or_b32 v8, v11, s10, v8
	v_or_b32_e32 v16, 0x1000, v1
	v_add_u32_e32 v7, 0xfffffc10, v7
	v_med3_i32 v11, v17, 0, 13
	v_cmp_ne_u32_e32 vcc, 0, v1
	v_or_b32_e32 v18, 0x1000, v8
	v_lshrrev_b32_e32 v20, v5, v16
	v_add_u32_e32 v14, 0xfffffc10, v14
	v_lshl_or_b32 v17, v7, 12, v1
	v_cndmask_b32_e64 v1, 0, 1, vcc
	v_cmp_ne_u32_e32 vcc, 0, v8
	v_lshrrev_b32_e32 v21, v11, v18
	v_lshlrev_b32_e32 v5, v5, v20
	v_lshl_or_b32 v19, v14, 12, v8
	v_cndmask_b32_e64 v8, 0, 1, vcc
	v_lshlrev_b32_e32 v11, v11, v21
	v_cmp_ne_u32_e32 vcc, v5, v16
	v_cndmask_b32_e64 v5, 0, 1, vcc
	v_cmp_ne_u32_e32 vcc, v11, v18
	v_cndmask_b32_e64 v11, 0, 1, vcc
	v_or_b32_e32 v5, v20, v5
	v_cmp_gt_i32_e32 vcc, 1, v7
	v_cndmask_b32_e32 v5, v17, v5, vcc
	v_or_b32_e32 v11, v21, v11
	v_cmp_gt_i32_e32 vcc, 1, v14
	v_and_b32_e32 v16, 7, v5
	v_cndmask_b32_e32 v11, v19, v11, vcc
	v_cmp_lt_i32_e32 vcc, 5, v16
	v_cmp_eq_u32_e64 s[0:1], 3, v16
	v_lshrrev_b32_e32 v5, 2, v5
	v_and_b32_e32 v17, 7, v11
	s_or_b64 vcc, s[0:1], vcc
	v_cmp_lt_i32_e64 s[2:3], 5, v17
	v_cmp_eq_u32_e64 s[4:5], 3, v17
	v_addc_co_u32_e32 v5, vcc, 0, v5, vcc
	v_lshrrev_b32_e32 v11, 2, v11
	s_or_b64 vcc, s[4:5], s[2:3]
	v_addc_co_u32_e32 v11, vcc, 0, v11, vcc
	v_cmp_gt_i32_e32 vcc, 31, v7
	v_cndmask_b32_e32 v5, v2, v5, vcc
	v_cmp_gt_i32_e32 vcc, 31, v14
	v_lshl_or_b32 v1, v1, 9, v2
	v_cndmask_b32_e32 v11, v2, v11, vcc
	v_cmp_eq_u32_e32 vcc, s11, v7
	v_lshrrev_b32_e32 v6, 16, v6
	v_lshl_or_b32 v8, v8, 9, v2
	v_cndmask_b32_e32 v1, v5, v1, vcc
	v_cmp_eq_u32_e32 vcc, s11, v14
	v_lshrrev_b32_e32 v15, 16, v15
	v_cndmask_b32_e32 v5, v11, v8, vcc
	v_and_or_b32 v1, v6, s14, v1
	v_and_or_b32 v5, v15, s14, v5
	v_and_b32_e32 v1, 0xffff, v1
	v_lshl_or_b32 v1, v5, 16, v1
	global_store_dword v[3:4], v1, off
	global_load_dword v1, v[12:13], off offset:724
	ds_read2_b32 v[3:4], v57 offset0:181 offset1:202
	s_waitcnt lgkmcnt(0)
	v_lshrrev_b32_e32 v5, 16, v3
	s_waitcnt vmcnt(0)
	v_mul_f16_sdwa v6, v5, v1 dst_sel:DWORD dst_unused:UNUSED_PAD src0_sel:DWORD src1_sel:WORD_1
	v_fma_f16 v6, v3, v1, v6
	v_mul_f16_sdwa v3, v3, v1 dst_sel:DWORD dst_unused:UNUSED_PAD src0_sel:DWORD src1_sel:WORD_1
	v_cvt_f32_f16_e32 v6, v6
	v_fma_f16 v1, v1, v5, -v3
	v_cvt_f32_f16_e32 v1, v1
	v_cvt_f64_f32_e32 v[5:6], v6
	v_cvt_f64_f32_e32 v[7:8], v1
	v_mov_b32_e32 v1, 0xa8
	v_mul_f64 v[5:6], v[5:6], s[12:13]
	v_mad_u64_u32 v[9:10], s[0:1], s8, v1, v[9:10]
	v_mul_f64 v[7:8], v[7:8], s[12:13]
	s_mul_i32 s0, s9, 0xa8
	v_add_u32_e32 v10, s0, v10
	v_and_or_b32 v1, v6, s15, v5
	v_cmp_ne_u32_e32 vcc, 0, v1
	v_lshrrev_b32_e32 v3, 8, v6
	v_and_or_b32 v7, v8, s15, v7
	v_bfe_u32 v5, v6, 20, 11
	v_cndmask_b32_e64 v1, 0, 1, vcc
	v_cmp_ne_u32_e32 vcc, 0, v7
	v_lshrrev_b32_e32 v11, 8, v8
	v_bfe_u32 v14, v8, 20, 11
	v_sub_u32_e32 v15, 0x3f1, v5
	v_cndmask_b32_e64 v7, 0, 1, vcc
	v_and_or_b32 v1, v3, s10, v1
	v_sub_u32_e32 v16, 0x3f1, v14
	v_med3_i32 v3, v15, 0, 13
	v_and_or_b32 v7, v11, s10, v7
	v_or_b32_e32 v15, 0x1000, v1
	v_add_u32_e32 v5, 0xfffffc10, v5
	v_med3_i32 v11, v16, 0, 13
	v_cmp_ne_u32_e32 vcc, 0, v1
	v_or_b32_e32 v17, 0x1000, v7
	v_lshrrev_b32_e32 v19, v3, v15
	v_add_u32_e32 v14, 0xfffffc10, v14
	v_lshl_or_b32 v16, v5, 12, v1
	v_cndmask_b32_e64 v1, 0, 1, vcc
	v_cmp_ne_u32_e32 vcc, 0, v7
	v_lshrrev_b32_e32 v20, v11, v17
	v_lshlrev_b32_e32 v3, v3, v19
	v_lshl_or_b32 v18, v14, 12, v7
	v_cndmask_b32_e64 v7, 0, 1, vcc
	v_lshlrev_b32_e32 v11, v11, v20
	v_cmp_ne_u32_e32 vcc, v3, v15
	v_cndmask_b32_e64 v3, 0, 1, vcc
	v_cmp_ne_u32_e32 vcc, v11, v17
	v_cndmask_b32_e64 v11, 0, 1, vcc
	v_or_b32_e32 v3, v19, v3
	v_cmp_gt_i32_e32 vcc, 1, v5
	v_cndmask_b32_e32 v3, v16, v3, vcc
	v_or_b32_e32 v11, v20, v11
	v_cmp_gt_i32_e32 vcc, 1, v14
	v_and_b32_e32 v15, 7, v3
	v_cndmask_b32_e32 v11, v18, v11, vcc
	v_cmp_lt_i32_e32 vcc, 5, v15
	v_cmp_eq_u32_e64 s[0:1], 3, v15
	v_lshrrev_b32_e32 v3, 2, v3
	v_and_b32_e32 v16, 7, v11
	s_or_b64 vcc, s[0:1], vcc
	v_cmp_lt_i32_e64 s[2:3], 5, v16
	v_cmp_eq_u32_e64 s[4:5], 3, v16
	v_addc_co_u32_e32 v3, vcc, 0, v3, vcc
	v_lshrrev_b32_e32 v11, 2, v11
	s_or_b64 vcc, s[4:5], s[2:3]
	v_addc_co_u32_e32 v11, vcc, 0, v11, vcc
	v_cmp_gt_i32_e32 vcc, 31, v5
	v_cndmask_b32_e32 v3, v2, v3, vcc
	v_cmp_gt_i32_e32 vcc, 31, v14
	v_lshl_or_b32 v1, v1, 9, v2
	v_cndmask_b32_e32 v11, v2, v11, vcc
	v_cmp_eq_u32_e32 vcc, s11, v5
	v_lshrrev_b32_e32 v6, 16, v6
	v_lshl_or_b32 v7, v7, 9, v2
	v_cndmask_b32_e32 v1, v3, v1, vcc
	v_cmp_eq_u32_e32 vcc, s11, v14
	v_lshrrev_b32_e32 v8, 16, v8
	v_cndmask_b32_e32 v3, v11, v7, vcc
	v_and_or_b32 v1, v6, s14, v1
	v_and_or_b32 v3, v8, s14, v3
	v_and_b32_e32 v1, 0xffff, v1
	v_lshl_or_b32 v1, v3, 16, v1
	global_store_dword v[9:10], v1, off
	global_load_dword v1, v[12:13], off offset:808
	v_lshrrev_b32_e32 v3, 16, v4
	v_add_co_u32_e32 v7, vcc, s6, v9
	v_addc_co_u32_e32 v8, vcc, v10, v0, vcc
	s_waitcnt vmcnt(0)
	v_mul_f16_sdwa v5, v3, v1 dst_sel:DWORD dst_unused:UNUSED_PAD src0_sel:DWORD src1_sel:WORD_1
	v_fma_f16 v5, v4, v1, v5
	v_mul_f16_sdwa v4, v4, v1 dst_sel:DWORD dst_unused:UNUSED_PAD src0_sel:DWORD src1_sel:WORD_1
	v_cvt_f32_f16_e32 v5, v5
	v_fma_f16 v1, v1, v3, -v4
	v_cvt_f32_f16_e32 v1, v1
	v_cvt_f64_f32_e32 v[3:4], v5
	v_cvt_f64_f32_e32 v[5:6], v1
	v_mul_f64 v[3:4], v[3:4], s[12:13]
	v_mul_f64 v[5:6], v[5:6], s[12:13]
	v_and_or_b32 v1, v4, s15, v3
	v_cmp_ne_u32_e32 vcc, 0, v1
	v_and_or_b32 v5, v6, s15, v5
	v_lshrrev_b32_e32 v3, 8, v4
	v_bfe_u32 v9, v4, 20, 11
	v_cndmask_b32_e64 v1, 0, 1, vcc
	v_cmp_ne_u32_e32 vcc, 0, v5
	v_lshrrev_b32_e32 v10, 8, v6
	v_bfe_u32 v11, v6, 20, 11
	v_sub_u32_e32 v14, 0x3f1, v9
	v_cndmask_b32_e64 v5, 0, 1, vcc
	v_and_or_b32 v1, v3, s10, v1
	v_sub_u32_e32 v15, 0x3f1, v11
	v_med3_i32 v3, v14, 0, 13
	v_and_or_b32 v5, v10, s10, v5
	v_or_b32_e32 v14, 0x1000, v1
	v_add_u32_e32 v9, 0xfffffc10, v9
	v_med3_i32 v10, v15, 0, 13
	v_cmp_ne_u32_e32 vcc, 0, v1
	v_or_b32_e32 v16, 0x1000, v5
	v_lshrrev_b32_e32 v18, v3, v14
	v_add_u32_e32 v11, 0xfffffc10, v11
	v_lshl_or_b32 v15, v9, 12, v1
	v_cndmask_b32_e64 v1, 0, 1, vcc
	v_cmp_ne_u32_e32 vcc, 0, v5
	v_lshrrev_b32_e32 v19, v10, v16
	v_lshlrev_b32_e32 v3, v3, v18
	v_lshl_or_b32 v17, v11, 12, v5
	v_cndmask_b32_e64 v5, 0, 1, vcc
	v_lshlrev_b32_e32 v10, v10, v19
	v_cmp_ne_u32_e32 vcc, v3, v14
	v_cndmask_b32_e64 v3, 0, 1, vcc
	v_cmp_ne_u32_e32 vcc, v10, v16
	v_cndmask_b32_e64 v10, 0, 1, vcc
	v_or_b32_e32 v3, v18, v3
	v_cmp_gt_i32_e32 vcc, 1, v9
	v_cndmask_b32_e32 v3, v15, v3, vcc
	v_or_b32_e32 v10, v19, v10
	v_cmp_gt_i32_e32 vcc, 1, v11
	v_and_b32_e32 v14, 7, v3
	v_cndmask_b32_e32 v10, v17, v10, vcc
	v_cmp_lt_i32_e32 vcc, 5, v14
	v_cmp_eq_u32_e64 s[0:1], 3, v14
	v_lshrrev_b32_e32 v3, 2, v3
	v_and_b32_e32 v15, 7, v10
	s_or_b64 vcc, s[0:1], vcc
	v_cmp_lt_i32_e64 s[2:3], 5, v15
	v_cmp_eq_u32_e64 s[4:5], 3, v15
	v_addc_co_u32_e32 v3, vcc, 0, v3, vcc
	v_lshrrev_b32_e32 v10, 2, v10
	s_or_b64 vcc, s[4:5], s[2:3]
	v_addc_co_u32_e32 v10, vcc, 0, v10, vcc
	v_cmp_gt_i32_e32 vcc, 31, v9
	v_cndmask_b32_e32 v3, v2, v3, vcc
	v_cmp_gt_i32_e32 vcc, 31, v11
	v_lshl_or_b32 v1, v1, 9, v2
	v_cndmask_b32_e32 v10, v2, v10, vcc
	v_cmp_eq_u32_e32 vcc, s11, v9
	v_lshrrev_b32_e32 v4, 16, v4
	v_lshl_or_b32 v5, v5, 9, v2
	v_cndmask_b32_e32 v1, v3, v1, vcc
	v_cmp_eq_u32_e32 vcc, s11, v11
	v_lshrrev_b32_e32 v6, 16, v6
	v_cndmask_b32_e32 v3, v10, v5, vcc
	v_and_or_b32 v1, v4, s14, v1
	v_and_or_b32 v3, v6, s14, v3
	v_and_b32_e32 v1, 0xffff, v1
	v_lshl_or_b32 v1, v3, 16, v1
	global_store_dword v[7:8], v1, off
	global_load_dword v1, v[12:13], off offset:892
	ds_read2_b32 v[3:4], v57 offset0:223 offset1:244
	v_add_co_u32_e32 v7, vcc, s6, v7
	v_addc_co_u32_e32 v8, vcc, v8, v0, vcc
	s_waitcnt lgkmcnt(0)
	v_lshrrev_b32_e32 v5, 16, v3
	s_waitcnt vmcnt(0)
	v_mul_f16_sdwa v6, v5, v1 dst_sel:DWORD dst_unused:UNUSED_PAD src0_sel:DWORD src1_sel:WORD_1
	v_fma_f16 v6, v3, v1, v6
	v_mul_f16_sdwa v3, v3, v1 dst_sel:DWORD dst_unused:UNUSED_PAD src0_sel:DWORD src1_sel:WORD_1
	v_cvt_f32_f16_e32 v6, v6
	v_fma_f16 v1, v1, v5, -v3
	v_cvt_f32_f16_e32 v1, v1
	v_cvt_f64_f32_e32 v[5:6], v6
	v_cvt_f64_f32_e32 v[9:10], v1
	v_mul_f64 v[5:6], v[5:6], s[12:13]
	v_mul_f64 v[9:10], v[9:10], s[12:13]
	v_and_or_b32 v1, v6, s15, v5
	v_cmp_ne_u32_e32 vcc, 0, v1
	v_and_or_b32 v9, v10, s15, v9
	v_lshrrev_b32_e32 v3, 8, v6
	v_bfe_u32 v5, v6, 20, 11
	v_cndmask_b32_e64 v1, 0, 1, vcc
	v_cmp_ne_u32_e32 vcc, 0, v9
	v_lshrrev_b32_e32 v11, 8, v10
	v_bfe_u32 v14, v10, 20, 11
	v_sub_u32_e32 v15, 0x3f1, v5
	v_cndmask_b32_e64 v9, 0, 1, vcc
	v_and_or_b32 v1, v3, s10, v1
	v_sub_u32_e32 v16, 0x3f1, v14
	v_med3_i32 v3, v15, 0, 13
	v_and_or_b32 v9, v11, s10, v9
	v_or_b32_e32 v15, 0x1000, v1
	v_add_u32_e32 v5, 0xfffffc10, v5
	v_med3_i32 v11, v16, 0, 13
	v_cmp_ne_u32_e32 vcc, 0, v1
	v_or_b32_e32 v17, 0x1000, v9
	v_lshrrev_b32_e32 v19, v3, v15
	v_add_u32_e32 v14, 0xfffffc10, v14
	v_lshl_or_b32 v16, v5, 12, v1
	v_cndmask_b32_e64 v1, 0, 1, vcc
	v_cmp_ne_u32_e32 vcc, 0, v9
	v_lshrrev_b32_e32 v20, v11, v17
	v_lshlrev_b32_e32 v3, v3, v19
	v_lshl_or_b32 v18, v14, 12, v9
	v_cndmask_b32_e64 v9, 0, 1, vcc
	v_lshlrev_b32_e32 v11, v11, v20
	v_cmp_ne_u32_e32 vcc, v3, v15
	v_cndmask_b32_e64 v3, 0, 1, vcc
	v_cmp_ne_u32_e32 vcc, v11, v17
	v_cndmask_b32_e64 v11, 0, 1, vcc
	v_or_b32_e32 v3, v19, v3
	v_cmp_gt_i32_e32 vcc, 1, v5
	v_cndmask_b32_e32 v3, v16, v3, vcc
	v_or_b32_e32 v11, v20, v11
	v_cmp_gt_i32_e32 vcc, 1, v14
	v_and_b32_e32 v15, 7, v3
	v_cndmask_b32_e32 v11, v18, v11, vcc
	v_cmp_lt_i32_e32 vcc, 5, v15
	v_cmp_eq_u32_e64 s[0:1], 3, v15
	v_lshrrev_b32_e32 v3, 2, v3
	v_and_b32_e32 v16, 7, v11
	s_or_b64 vcc, s[0:1], vcc
	v_cmp_lt_i32_e64 s[2:3], 5, v16
	v_cmp_eq_u32_e64 s[4:5], 3, v16
	v_addc_co_u32_e32 v3, vcc, 0, v3, vcc
	v_lshrrev_b32_e32 v11, 2, v11
	s_or_b64 vcc, s[4:5], s[2:3]
	v_addc_co_u32_e32 v11, vcc, 0, v11, vcc
	v_cmp_gt_i32_e32 vcc, 31, v5
	v_cndmask_b32_e32 v3, v2, v3, vcc
	v_cmp_gt_i32_e32 vcc, 31, v14
	v_lshl_or_b32 v1, v1, 9, v2
	v_cndmask_b32_e32 v11, v2, v11, vcc
	v_cmp_eq_u32_e32 vcc, s11, v5
	v_lshrrev_b32_e32 v6, 16, v6
	v_lshl_or_b32 v9, v9, 9, v2
	v_cndmask_b32_e32 v1, v3, v1, vcc
	v_cmp_eq_u32_e32 vcc, s11, v14
	v_lshrrev_b32_e32 v10, 16, v10
	v_cndmask_b32_e32 v3, v11, v9, vcc
	v_and_or_b32 v1, v6, s14, v1
	v_and_or_b32 v3, v10, s14, v3
	v_and_b32_e32 v1, 0xffff, v1
	v_lshl_or_b32 v1, v3, 16, v1
	global_store_dword v[7:8], v1, off
	global_load_dword v1, v[12:13], off offset:976
	v_lshrrev_b32_e32 v3, 16, v4
	v_add_co_u32_e32 v7, vcc, s6, v7
	v_addc_co_u32_e32 v8, vcc, v8, v0, vcc
	s_waitcnt vmcnt(0)
	v_mul_f16_sdwa v5, v3, v1 dst_sel:DWORD dst_unused:UNUSED_PAD src0_sel:DWORD src1_sel:WORD_1
	v_fma_f16 v5, v4, v1, v5
	v_mul_f16_sdwa v4, v4, v1 dst_sel:DWORD dst_unused:UNUSED_PAD src0_sel:DWORD src1_sel:WORD_1
	v_cvt_f32_f16_e32 v5, v5
	v_fma_f16 v1, v1, v3, -v4
	v_cvt_f32_f16_e32 v1, v1
	v_cvt_f64_f32_e32 v[3:4], v5
	v_cvt_f64_f32_e32 v[5:6], v1
	v_mul_f64 v[3:4], v[3:4], s[12:13]
	v_mul_f64 v[5:6], v[5:6], s[12:13]
	v_and_or_b32 v1, v4, s15, v3
	v_cmp_ne_u32_e32 vcc, 0, v1
	v_and_or_b32 v5, v6, s15, v5
	v_lshrrev_b32_e32 v3, 8, v4
	v_bfe_u32 v9, v4, 20, 11
	v_cndmask_b32_e64 v1, 0, 1, vcc
	v_cmp_ne_u32_e32 vcc, 0, v5
	v_lshrrev_b32_e32 v10, 8, v6
	v_bfe_u32 v11, v6, 20, 11
	v_sub_u32_e32 v14, 0x3f1, v9
	v_cndmask_b32_e64 v5, 0, 1, vcc
	v_and_or_b32 v1, v3, s10, v1
	v_sub_u32_e32 v15, 0x3f1, v11
	v_med3_i32 v3, v14, 0, 13
	v_and_or_b32 v5, v10, s10, v5
	v_or_b32_e32 v14, 0x1000, v1
	v_add_u32_e32 v9, 0xfffffc10, v9
	v_med3_i32 v10, v15, 0, 13
	v_cmp_ne_u32_e32 vcc, 0, v1
	v_or_b32_e32 v16, 0x1000, v5
	v_lshrrev_b32_e32 v18, v3, v14
	v_add_u32_e32 v11, 0xfffffc10, v11
	v_lshl_or_b32 v15, v9, 12, v1
	v_cndmask_b32_e64 v1, 0, 1, vcc
	v_cmp_ne_u32_e32 vcc, 0, v5
	v_lshrrev_b32_e32 v19, v10, v16
	v_lshlrev_b32_e32 v3, v3, v18
	v_lshl_or_b32 v17, v11, 12, v5
	v_cndmask_b32_e64 v5, 0, 1, vcc
	v_lshlrev_b32_e32 v10, v10, v19
	v_cmp_ne_u32_e32 vcc, v3, v14
	v_cndmask_b32_e64 v3, 0, 1, vcc
	v_cmp_ne_u32_e32 vcc, v10, v16
	v_cndmask_b32_e64 v10, 0, 1, vcc
	v_or_b32_e32 v3, v18, v3
	v_cmp_gt_i32_e32 vcc, 1, v9
	v_cndmask_b32_e32 v3, v15, v3, vcc
	v_or_b32_e32 v10, v19, v10
	v_cmp_gt_i32_e32 vcc, 1, v11
	v_and_b32_e32 v14, 7, v3
	v_cndmask_b32_e32 v10, v17, v10, vcc
	v_cmp_lt_i32_e32 vcc, 5, v14
	v_cmp_eq_u32_e64 s[0:1], 3, v14
	v_lshrrev_b32_e32 v3, 2, v3
	v_and_b32_e32 v15, 7, v10
	s_or_b64 vcc, s[0:1], vcc
	v_cmp_lt_i32_e64 s[2:3], 5, v15
	v_cmp_eq_u32_e64 s[4:5], 3, v15
	v_addc_co_u32_e32 v3, vcc, 0, v3, vcc
	v_lshrrev_b32_e32 v10, 2, v10
	s_or_b64 vcc, s[4:5], s[2:3]
	v_addc_co_u32_e32 v10, vcc, 0, v10, vcc
	v_cmp_gt_i32_e32 vcc, 31, v9
	v_cndmask_b32_e32 v3, v2, v3, vcc
	v_cmp_gt_i32_e32 vcc, 31, v11
	v_lshl_or_b32 v1, v1, 9, v2
	v_cndmask_b32_e32 v10, v2, v10, vcc
	v_cmp_eq_u32_e32 vcc, s11, v9
	v_lshrrev_b32_e32 v4, 16, v4
	v_lshl_or_b32 v5, v5, 9, v2
	v_cndmask_b32_e32 v1, v3, v1, vcc
	v_cmp_eq_u32_e32 vcc, s11, v11
	v_lshrrev_b32_e32 v6, 16, v6
	v_cndmask_b32_e32 v3, v10, v5, vcc
	v_and_or_b32 v1, v4, s14, v1
	v_and_or_b32 v3, v6, s14, v3
	v_and_b32_e32 v1, 0xffff, v1
	v_lshl_or_b32 v1, v3, 16, v1
	global_store_dword v[7:8], v1, off
	global_load_dword v1, v[12:13], off offset:1060
	ds_read_b32 v3, v57 offset:1060
	s_waitcnt lgkmcnt(0)
	v_lshrrev_b32_e32 v4, 16, v3
	s_waitcnt vmcnt(0)
	v_mul_f16_sdwa v5, v4, v1 dst_sel:DWORD dst_unused:UNUSED_PAD src0_sel:DWORD src1_sel:WORD_1
	v_fma_f16 v5, v3, v1, v5
	v_mul_f16_sdwa v3, v3, v1 dst_sel:DWORD dst_unused:UNUSED_PAD src0_sel:DWORD src1_sel:WORD_1
	v_cvt_f32_f16_e32 v5, v5
	v_fma_f16 v1, v1, v4, -v3
	v_cvt_f32_f16_e32 v1, v1
	v_cvt_f64_f32_e32 v[3:4], v5
	v_cvt_f64_f32_e32 v[5:6], v1
	v_mul_f64 v[3:4], v[3:4], s[12:13]
	v_mul_f64 v[5:6], v[5:6], s[12:13]
	v_and_or_b32 v1, v4, s15, v3
	v_cmp_ne_u32_e32 vcc, 0, v1
	v_and_or_b32 v5, v6, s15, v5
	v_lshrrev_b32_e32 v3, 8, v4
	v_bfe_u32 v9, v4, 20, 11
	v_cndmask_b32_e64 v1, 0, 1, vcc
	v_cmp_ne_u32_e32 vcc, 0, v5
	v_lshrrev_b32_e32 v10, 8, v6
	v_bfe_u32 v11, v6, 20, 11
	v_sub_u32_e32 v12, 0x3f1, v9
	v_cndmask_b32_e64 v5, 0, 1, vcc
	v_and_or_b32 v1, v3, s10, v1
	v_sub_u32_e32 v13, 0x3f1, v11
	v_med3_i32 v3, v12, 0, 13
	v_and_or_b32 v5, v10, s10, v5
	v_or_b32_e32 v12, 0x1000, v1
	v_add_u32_e32 v9, 0xfffffc10, v9
	v_med3_i32 v10, v13, 0, 13
	v_cmp_ne_u32_e32 vcc, 0, v1
	v_or_b32_e32 v14, 0x1000, v5
	v_lshrrev_b32_e32 v16, v3, v12
	v_add_u32_e32 v11, 0xfffffc10, v11
	v_lshl_or_b32 v13, v9, 12, v1
	v_cndmask_b32_e64 v1, 0, 1, vcc
	v_cmp_ne_u32_e32 vcc, 0, v5
	v_lshrrev_b32_e32 v17, v10, v14
	v_lshlrev_b32_e32 v3, v3, v16
	v_lshl_or_b32 v15, v11, 12, v5
	v_cndmask_b32_e64 v5, 0, 1, vcc
	v_lshlrev_b32_e32 v10, v10, v17
	v_cmp_ne_u32_e32 vcc, v3, v12
	v_cndmask_b32_e64 v3, 0, 1, vcc
	v_cmp_ne_u32_e32 vcc, v10, v14
	v_cndmask_b32_e64 v10, 0, 1, vcc
	v_or_b32_e32 v3, v16, v3
	v_cmp_gt_i32_e32 vcc, 1, v9
	v_cndmask_b32_e32 v3, v13, v3, vcc
	v_or_b32_e32 v10, v17, v10
	v_cmp_gt_i32_e32 vcc, 1, v11
	v_and_b32_e32 v12, 7, v3
	v_cndmask_b32_e32 v10, v15, v10, vcc
	v_cmp_lt_i32_e32 vcc, 5, v12
	v_cmp_eq_u32_e64 s[0:1], 3, v12
	v_lshrrev_b32_e32 v3, 2, v3
	v_and_b32_e32 v13, 7, v10
	s_or_b64 vcc, s[0:1], vcc
	v_cmp_lt_i32_e64 s[2:3], 5, v13
	v_cmp_eq_u32_e64 s[4:5], 3, v13
	v_addc_co_u32_e32 v3, vcc, 0, v3, vcc
	v_lshrrev_b32_e32 v10, 2, v10
	s_or_b64 vcc, s[4:5], s[2:3]
	v_addc_co_u32_e32 v10, vcc, 0, v10, vcc
	v_cmp_gt_i32_e32 vcc, 31, v9
	v_cndmask_b32_e32 v3, v2, v3, vcc
	v_cmp_gt_i32_e32 vcc, 31, v11
	v_lshl_or_b32 v1, v1, 9, v2
	v_lshl_or_b32 v5, v5, 9, v2
	v_cndmask_b32_e32 v2, v2, v10, vcc
	v_cmp_eq_u32_e32 vcc, s11, v9
	v_lshrrev_b32_e32 v4, 16, v4
	v_cndmask_b32_e32 v1, v3, v1, vcc
	v_cmp_eq_u32_e32 vcc, s11, v11
	v_lshrrev_b32_e32 v6, 16, v6
	v_cndmask_b32_e32 v2, v2, v5, vcc
	v_and_or_b32 v1, v4, s14, v1
	v_and_or_b32 v2, v6, s14, v2
	v_and_b32_e32 v1, 0xffff, v1
	v_lshl_or_b32 v3, v2, 16, v1
	v_add_co_u32_e32 v1, vcc, s6, v7
	v_addc_co_u32_e32 v2, vcc, v8, v0, vcc
	global_store_dword v[1:2], v3, off
.LBB0_15:
	s_endpgm
	.section	.rodata,"a",@progbits
	.p2align	6, 0x0
	.amdhsa_kernel bluestein_single_fwd_len273_dim1_half_op_CI_CI
		.amdhsa_group_segment_fixed_size 4368
		.amdhsa_private_segment_fixed_size 0
		.amdhsa_kernarg_size 104
		.amdhsa_user_sgpr_count 6
		.amdhsa_user_sgpr_private_segment_buffer 1
		.amdhsa_user_sgpr_dispatch_ptr 0
		.amdhsa_user_sgpr_queue_ptr 0
		.amdhsa_user_sgpr_kernarg_segment_ptr 1
		.amdhsa_user_sgpr_dispatch_id 0
		.amdhsa_user_sgpr_flat_scratch_init 0
		.amdhsa_user_sgpr_private_segment_size 0
		.amdhsa_uses_dynamic_stack 0
		.amdhsa_system_sgpr_private_segment_wavefront_offset 0
		.amdhsa_system_sgpr_workgroup_id_x 1
		.amdhsa_system_sgpr_workgroup_id_y 0
		.amdhsa_system_sgpr_workgroup_id_z 0
		.amdhsa_system_sgpr_workgroup_info 0
		.amdhsa_system_vgpr_workitem_id 0
		.amdhsa_next_free_vgpr 179
		.amdhsa_next_free_sgpr 41
		.amdhsa_reserve_vcc 1
		.amdhsa_reserve_flat_scratch 0
		.amdhsa_float_round_mode_32 0
		.amdhsa_float_round_mode_16_64 0
		.amdhsa_float_denorm_mode_32 3
		.amdhsa_float_denorm_mode_16_64 3
		.amdhsa_dx10_clamp 1
		.amdhsa_ieee_mode 1
		.amdhsa_fp16_overflow 0
		.amdhsa_exception_fp_ieee_invalid_op 0
		.amdhsa_exception_fp_denorm_src 0
		.amdhsa_exception_fp_ieee_div_zero 0
		.amdhsa_exception_fp_ieee_overflow 0
		.amdhsa_exception_fp_ieee_underflow 0
		.amdhsa_exception_fp_ieee_inexact 0
		.amdhsa_exception_int_div_zero 0
	.end_amdhsa_kernel
	.text
.Lfunc_end0:
	.size	bluestein_single_fwd_len273_dim1_half_op_CI_CI, .Lfunc_end0-bluestein_single_fwd_len273_dim1_half_op_CI_CI
                                        ; -- End function
	.section	.AMDGPU.csdata,"",@progbits
; Kernel info:
; codeLenInByte = 38196
; NumSgprs: 45
; NumVgprs: 179
; ScratchSize: 0
; MemoryBound: 0
; FloatMode: 240
; IeeeMode: 1
; LDSByteSize: 4368 bytes/workgroup (compile time only)
; SGPRBlocks: 5
; VGPRBlocks: 44
; NumSGPRsForWavesPerEU: 45
; NumVGPRsForWavesPerEU: 179
; Occupancy: 1
; WaveLimiterHint : 1
; COMPUTE_PGM_RSRC2:SCRATCH_EN: 0
; COMPUTE_PGM_RSRC2:USER_SGPR: 6
; COMPUTE_PGM_RSRC2:TRAP_HANDLER: 0
; COMPUTE_PGM_RSRC2:TGID_X_EN: 1
; COMPUTE_PGM_RSRC2:TGID_Y_EN: 0
; COMPUTE_PGM_RSRC2:TGID_Z_EN: 0
; COMPUTE_PGM_RSRC2:TIDIG_COMP_CNT: 0
	.type	__hip_cuid_e98ad07fa3c1c0a3,@object ; @__hip_cuid_e98ad07fa3c1c0a3
	.section	.bss,"aw",@nobits
	.globl	__hip_cuid_e98ad07fa3c1c0a3
__hip_cuid_e98ad07fa3c1c0a3:
	.byte	0                               ; 0x0
	.size	__hip_cuid_e98ad07fa3c1c0a3, 1

	.ident	"AMD clang version 19.0.0git (https://github.com/RadeonOpenCompute/llvm-project roc-6.4.0 25133 c7fe45cf4b819c5991fe208aaa96edf142730f1d)"
	.section	".note.GNU-stack","",@progbits
	.addrsig
	.addrsig_sym __hip_cuid_e98ad07fa3c1c0a3
	.amdgpu_metadata
---
amdhsa.kernels:
  - .args:
      - .actual_access:  read_only
        .address_space:  global
        .offset:         0
        .size:           8
        .value_kind:     global_buffer
      - .actual_access:  read_only
        .address_space:  global
        .offset:         8
        .size:           8
        .value_kind:     global_buffer
      - .actual_access:  read_only
        .address_space:  global
        .offset:         16
        .size:           8
        .value_kind:     global_buffer
      - .actual_access:  read_only
        .address_space:  global
        .offset:         24
        .size:           8
        .value_kind:     global_buffer
      - .actual_access:  read_only
        .address_space:  global
        .offset:         32
        .size:           8
        .value_kind:     global_buffer
      - .offset:         40
        .size:           8
        .value_kind:     by_value
      - .address_space:  global
        .offset:         48
        .size:           8
        .value_kind:     global_buffer
      - .address_space:  global
        .offset:         56
        .size:           8
        .value_kind:     global_buffer
      - .address_space:  global
        .offset:         64
        .size:           8
        .value_kind:     global_buffer
      - .address_space:  global
        .offset:         72
        .size:           8
        .value_kind:     global_buffer
      - .offset:         80
        .size:           4
        .value_kind:     by_value
      - .address_space:  global
        .offset:         88
        .size:           8
        .value_kind:     global_buffer
      - .address_space:  global
        .offset:         96
        .size:           8
        .value_kind:     global_buffer
    .group_segment_fixed_size: 4368
    .kernarg_segment_align: 8
    .kernarg_segment_size: 104
    .language:       OpenCL C
    .language_version:
      - 2
      - 0
    .max_flat_workgroup_size: 52
    .name:           bluestein_single_fwd_len273_dim1_half_op_CI_CI
    .private_segment_fixed_size: 0
    .sgpr_count:     45
    .sgpr_spill_count: 0
    .symbol:         bluestein_single_fwd_len273_dim1_half_op_CI_CI.kd
    .uniform_work_group_size: 1
    .uses_dynamic_stack: false
    .vgpr_count:     179
    .vgpr_spill_count: 0
    .wavefront_size: 64
amdhsa.target:   amdgcn-amd-amdhsa--gfx906
amdhsa.version:
  - 1
  - 2
...

	.end_amdgpu_metadata
